;; amdgpu-corpus repo=ggml-org/llama.cpp kind=compiled arch=gfx906 opt=O3
	.amdgcn_target "amdgcn-amd-amdhsa--gfx906"
	.amdhsa_code_object_version 6
	.section	.text._ZL17soft_max_back_f32PKfS0_Pfif,"axG",@progbits,_ZL17soft_max_back_f32PKfS0_Pfif,comdat
	.globl	_ZL17soft_max_back_f32PKfS0_Pfif ; -- Begin function _ZL17soft_max_back_f32PKfS0_Pfif
	.p2align	8
	.type	_ZL17soft_max_back_f32PKfS0_Pfif,@function
_ZL17soft_max_back_f32PKfS0_Pfif:       ; @_ZL17soft_max_back_f32PKfS0_Pfif
; %bb.0:
	s_load_dwordx8 s[8:15], s[4:5], 0x0
	v_mov_b32_e32 v6, 0
	v_lshlrev_b32_e32 v5, 2, v0
	s_waitcnt lgkmcnt(0)
	v_cmp_gt_i32_e64 s[0:1], s14, v0
	s_mul_hi_i32 s5, s6, s14
	s_mul_i32 s4, s6, s14
	s_and_saveexec_b64 s[6:7], s[0:1]
	s_cbranch_execz .LBB0_4
; %bb.1:
	s_lshl_b64 s[2:3], s[4:5], 2
	v_mov_b32_e32 v1, s3
	v_add_co_u32_e32 v3, vcc, s2, v5
	v_addc_co_u32_e32 v4, vcc, 0, v1, vcc
	v_mov_b32_e32 v2, s11
	v_add_co_u32_e32 v1, vcc, s10, v3
	v_addc_co_u32_e32 v2, vcc, v2, v4, vcc
	v_mov_b32_e32 v7, s9
	v_add_co_u32_e32 v3, vcc, s8, v3
	v_mov_b32_e32 v6, 0
	v_addc_co_u32_e32 v4, vcc, v7, v4, vcc
	s_mov_b64 s[16:17], 0
	v_mov_b32_e32 v7, v0
.LBB0_2:                                ; =>This Inner Loop Header: Depth=1
	global_load_dword v8, v[1:2], off
	global_load_dword v9, v[3:4], off
	v_add_co_u32_e32 v1, vcc, 0x80, v1
	v_add_u32_e32 v7, 32, v7
	v_addc_co_u32_e32 v2, vcc, 0, v2, vcc
	v_add_co_u32_e32 v3, vcc, 0x80, v3
	v_cmp_le_i32_e64 s[2:3], s14, v7
	v_addc_co_u32_e32 v4, vcc, 0, v4, vcc
	s_or_b64 s[16:17], s[2:3], s[16:17]
	s_waitcnt vmcnt(0)
	v_fmac_f32_e32 v6, v8, v9
	s_andn2_b64 exec, exec, s[16:17]
	s_cbranch_execnz .LBB0_2
; %bb.3:
	s_or_b64 exec, exec, s[16:17]
.LBB0_4:
	s_or_b64 exec, exec, s[6:7]
	v_mbcnt_lo_u32_b32 v1, -1, 0
	v_mbcnt_hi_u32_b32 v2, -1, v1
	v_and_b32_e32 v1, 0x60, v2
	v_add_u32_e32 v3, 32, v1
	v_xor_b32_e32 v1, 16, v2
	v_cmp_lt_i32_e32 vcc, v1, v3
	v_cndmask_b32_e32 v1, v2, v1, vcc
	v_lshlrev_b32_e32 v1, 2, v1
	ds_bpermute_b32 v1, v1, v6
	v_xor_b32_e32 v4, 8, v2
	v_cmp_lt_i32_e32 vcc, v4, v3
	v_cndmask_b32_e32 v4, v2, v4, vcc
	v_lshlrev_b32_e32 v4, 2, v4
	s_waitcnt lgkmcnt(0)
	v_add_f32_e32 v1, v6, v1
	ds_bpermute_b32 v4, v4, v1
	v_xor_b32_e32 v6, 4, v2
	v_cmp_lt_i32_e32 vcc, v6, v3
	s_waitcnt lgkmcnt(0)
	v_add_f32_e32 v1, v1, v4
	v_cndmask_b32_e32 v4, v2, v6, vcc
	v_lshlrev_b32_e32 v4, 2, v4
	ds_bpermute_b32 v4, v4, v1
	v_xor_b32_e32 v6, 2, v2
	v_cmp_lt_i32_e32 vcc, v6, v3
	s_waitcnt lgkmcnt(0)
	v_add_f32_e32 v1, v1, v4
	v_cndmask_b32_e32 v4, v2, v6, vcc
	v_lshlrev_b32_e32 v4, 2, v4
	ds_bpermute_b32 v4, v4, v1
	v_xor_b32_e32 v6, 1, v2
	v_cmp_lt_i32_e32 vcc, v6, v3
	v_cndmask_b32_e32 v2, v2, v6, vcc
	v_lshlrev_b32_e32 v2, 2, v2
	s_waitcnt lgkmcnt(0)
	v_add_f32_e32 v1, v1, v4
	ds_bpermute_b32 v2, v2, v1
	s_and_saveexec_b64 s[2:3], s[0:1]
	s_cbranch_execz .LBB0_7
; %bb.5:
	s_lshl_b64 s[0:1], s[4:5], 2
	s_waitcnt lgkmcnt(0)
	v_add_f32_e32 v7, v1, v2
	v_mov_b32_e32 v1, s1
	v_add_co_u32_e32 v5, vcc, s0, v5
	v_addc_co_u32_e32 v6, vcc, 0, v1, vcc
	v_mov_b32_e32 v2, s9
	v_add_co_u32_e32 v1, vcc, s8, v5
	v_addc_co_u32_e32 v2, vcc, v2, v6, vcc
	v_mov_b32_e32 v4, s11
	v_add_co_u32_e32 v3, vcc, s10, v5
	v_addc_co_u32_e32 v4, vcc, v4, v6, vcc
	v_mov_b32_e32 v8, s13
	v_add_co_u32_e32 v5, vcc, s12, v5
	v_addc_co_u32_e32 v6, vcc, v8, v6, vcc
	s_mov_b64 s[2:3], 0
.LBB0_6:                                ; =>This Inner Loop Header: Depth=1
	global_load_dword v8, v[1:2], off
	global_load_dword v9, v[3:4], off
	v_add_co_u32_e32 v1, vcc, 0x80, v1
	v_addc_co_u32_e32 v2, vcc, 0, v2, vcc
	v_add_co_u32_e32 v3, vcc, 0x80, v3
	v_add_u32_e32 v0, 32, v0
	v_addc_co_u32_e32 v4, vcc, 0, v4, vcc
	v_cmp_le_i32_e64 s[0:1], s14, v0
	s_or_b64 s[2:3], s[0:1], s[2:3]
	s_waitcnt vmcnt(1)
	v_sub_f32_e32 v8, v8, v7
	v_mul_f32_e32 v8, s15, v8
	s_waitcnt vmcnt(0)
	v_mul_f32_e32 v8, v9, v8
	global_store_dword v[5:6], v8, off
	v_add_co_u32_e32 v5, vcc, 0x80, v5
	v_addc_co_u32_e32 v6, vcc, 0, v6, vcc
	s_andn2_b64 exec, exec, s[2:3]
	s_cbranch_execnz .LBB0_6
.LBB0_7:
	s_endpgm
	.section	.rodata,"a",@progbits
	.p2align	6, 0x0
	.amdhsa_kernel _ZL17soft_max_back_f32PKfS0_Pfif
		.amdhsa_group_segment_fixed_size 0
		.amdhsa_private_segment_fixed_size 0
		.amdhsa_kernarg_size 32
		.amdhsa_user_sgpr_count 6
		.amdhsa_user_sgpr_private_segment_buffer 1
		.amdhsa_user_sgpr_dispatch_ptr 0
		.amdhsa_user_sgpr_queue_ptr 0
		.amdhsa_user_sgpr_kernarg_segment_ptr 1
		.amdhsa_user_sgpr_dispatch_id 0
		.amdhsa_user_sgpr_flat_scratch_init 0
		.amdhsa_user_sgpr_private_segment_size 0
		.amdhsa_uses_dynamic_stack 0
		.amdhsa_system_sgpr_private_segment_wavefront_offset 0
		.amdhsa_system_sgpr_workgroup_id_x 1
		.amdhsa_system_sgpr_workgroup_id_y 0
		.amdhsa_system_sgpr_workgroup_id_z 0
		.amdhsa_system_sgpr_workgroup_info 0
		.amdhsa_system_vgpr_workitem_id 0
		.amdhsa_next_free_vgpr 10
		.amdhsa_next_free_sgpr 18
		.amdhsa_reserve_vcc 1
		.amdhsa_reserve_flat_scratch 0
		.amdhsa_float_round_mode_32 0
		.amdhsa_float_round_mode_16_64 0
		.amdhsa_float_denorm_mode_32 3
		.amdhsa_float_denorm_mode_16_64 3
		.amdhsa_dx10_clamp 1
		.amdhsa_ieee_mode 1
		.amdhsa_fp16_overflow 0
		.amdhsa_exception_fp_ieee_invalid_op 0
		.amdhsa_exception_fp_denorm_src 0
		.amdhsa_exception_fp_ieee_div_zero 0
		.amdhsa_exception_fp_ieee_overflow 0
		.amdhsa_exception_fp_ieee_underflow 0
		.amdhsa_exception_fp_ieee_inexact 0
		.amdhsa_exception_int_div_zero 0
	.end_amdhsa_kernel
	.section	.text._ZL17soft_max_back_f32PKfS0_Pfif,"axG",@progbits,_ZL17soft_max_back_f32PKfS0_Pfif,comdat
.Lfunc_end0:
	.size	_ZL17soft_max_back_f32PKfS0_Pfif, .Lfunc_end0-_ZL17soft_max_back_f32PKfS0_Pfif
                                        ; -- End function
	.set _ZL17soft_max_back_f32PKfS0_Pfif.num_vgpr, 10
	.set _ZL17soft_max_back_f32PKfS0_Pfif.num_agpr, 0
	.set _ZL17soft_max_back_f32PKfS0_Pfif.numbered_sgpr, 18
	.set _ZL17soft_max_back_f32PKfS0_Pfif.num_named_barrier, 0
	.set _ZL17soft_max_back_f32PKfS0_Pfif.private_seg_size, 0
	.set _ZL17soft_max_back_f32PKfS0_Pfif.uses_vcc, 1
	.set _ZL17soft_max_back_f32PKfS0_Pfif.uses_flat_scratch, 0
	.set _ZL17soft_max_back_f32PKfS0_Pfif.has_dyn_sized_stack, 0
	.set _ZL17soft_max_back_f32PKfS0_Pfif.has_recursion, 0
	.set _ZL17soft_max_back_f32PKfS0_Pfif.has_indirect_call, 0
	.section	.AMDGPU.csdata,"",@progbits
; Kernel info:
; codeLenInByte = 536
; TotalNumSgprs: 22
; NumVgprs: 10
; ScratchSize: 0
; MemoryBound: 0
; FloatMode: 240
; IeeeMode: 1
; LDSByteSize: 0 bytes/workgroup (compile time only)
; SGPRBlocks: 2
; VGPRBlocks: 2
; NumSGPRsForWavesPerEU: 22
; NumVGPRsForWavesPerEU: 10
; Occupancy: 10
; WaveLimiterHint : 0
; COMPUTE_PGM_RSRC2:SCRATCH_EN: 0
; COMPUTE_PGM_RSRC2:USER_SGPR: 6
; COMPUTE_PGM_RSRC2:TRAP_HANDLER: 0
; COMPUTE_PGM_RSRC2:TGID_X_EN: 1
; COMPUTE_PGM_RSRC2:TGID_Y_EN: 0
; COMPUTE_PGM_RSRC2:TGID_Z_EN: 0
; COMPUTE_PGM_RSRC2:TIDIG_COMP_CNT: 0
	.text
	.p2align	2                               ; -- Begin function __ockl_fprintf_append_string_n
	.type	__ockl_fprintf_append_string_n,@function
__ockl_fprintf_append_string_n:         ; @__ockl_fprintf_append_string_n
; %bb.0:
	s_waitcnt vmcnt(0) expcnt(0) lgkmcnt(0)
	v_mov_b32_e32 v8, v3
	v_mov_b32_e32 v7, v2
	v_or_b32_e32 v2, 2, v0
	v_cmp_eq_u32_e32 vcc, 0, v6
	v_cndmask_b32_e32 v0, v2, v0, vcc
	v_cmp_ne_u64_e32 vcc, 0, v[7:8]
	s_mov_b32 s22, 0
	s_mov_b64 s[6:7], 0
	v_mbcnt_lo_u32_b32 v2, -1, 0
	s_and_saveexec_b64 s[4:5], vcc
	s_xor_b64 s[10:11], exec, s[4:5]
	s_cbranch_execz .LBB1_86
; %bb.1:
	s_load_dwordx2 s[12:13], s[8:9], 0x50
	v_and_b32_e32 v6, 2, v0
	v_mov_b32_e32 v29, 0
	v_and_b32_e32 v0, -3, v0
	v_mbcnt_hi_u32_b32 v34, -1, v2
	s_movk_i32 s23, 0x1e0
	v_mov_b32_e32 v11, 2
	v_mov_b32_e32 v12, 1
	s_branch .LBB1_3
.LBB1_2:                                ;   in Loop: Header=BB1_3 Depth=1
	s_or_b64 exec, exec, s[16:17]
	v_sub_co_u32_e32 v4, vcc, v4, v30
	v_subb_co_u32_e32 v5, vcc, v5, v31, vcc
	v_cmp_eq_u64_e32 vcc, 0, v[4:5]
	s_or_b64 s[6:7], vcc, s[6:7]
	v_add_co_u32_e32 v7, vcc, v7, v30
	v_addc_co_u32_e32 v8, vcc, v8, v31, vcc
	s_andn2_b64 exec, exec, s[6:7]
	s_cbranch_execz .LBB1_85
.LBB1_3:                                ; =>This Loop Header: Depth=1
                                        ;     Child Loop BB1_6 Depth 2
                                        ;     Child Loop BB1_14 Depth 2
	;; [unrolled: 1-line block ×11, first 2 shown]
	v_cmp_gt_u64_e32 vcc, 56, v[4:5]
	v_add_co_u32_e64 v15, s[4:5], 8, v7
	v_cndmask_b32_e32 v31, 0, v5, vcc
	v_cndmask_b32_e32 v30, 56, v4, vcc
	v_cmp_gt_u64_e32 vcc, 8, v[4:5]
	v_addc_co_u32_e64 v16, s[4:5], 0, v8, s[4:5]
	s_and_saveexec_b64 s[4:5], vcc
	s_xor_b64 s[4:5], exec, s[4:5]
	s_cbranch_execz .LBB1_9
; %bb.4:                                ;   in Loop: Header=BB1_3 Depth=1
	s_waitcnt vmcnt(0)
	v_mov_b32_e32 v2, 0
	v_cmp_ne_u64_e32 vcc, 0, v[4:5]
	v_mov_b32_e32 v3, 0
	s_and_saveexec_b64 s[14:15], vcc
	s_cbranch_execz .LBB1_8
; %bb.5:                                ;   in Loop: Header=BB1_3 Depth=1
	v_lshlrev_b64 v[9:10], 3, v[30:31]
	v_mov_b32_e32 v2, 0
	v_mov_b32_e32 v14, v8
	s_mov_b64 s[16:17], 0
	v_mov_b32_e32 v3, 0
	v_mov_b32_e32 v13, v7
	s_mov_b64 s[18:19], 0
.LBB1_6:                                ;   Parent Loop BB1_3 Depth=1
                                        ; =>  This Inner Loop Header: Depth=2
	global_load_ubyte v10, v[13:14], off
	v_mov_b32_e32 v16, s22
	v_add_co_u32_e32 v13, vcc, 1, v13
	v_addc_co_u32_e32 v14, vcc, 0, v14, vcc
	s_waitcnt vmcnt(0)
	v_and_b32_e32 v15, 0xffff, v10
	v_lshlrev_b64 v[15:16], s18, v[15:16]
	s_add_u32 s18, s18, 8
	s_addc_u32 s19, s19, 0
	v_cmp_eq_u32_e32 vcc, s18, v9
	v_or_b32_e32 v3, v16, v3
	s_or_b64 s[16:17], vcc, s[16:17]
	v_or_b32_e32 v2, v15, v2
	s_andn2_b64 exec, exec, s[16:17]
	s_cbranch_execnz .LBB1_6
; %bb.7:                                ;   in Loop: Header=BB1_3 Depth=1
	s_or_b64 exec, exec, s[16:17]
.LBB1_8:                                ;   in Loop: Header=BB1_3 Depth=1
	s_or_b64 exec, exec, s[14:15]
	v_mov_b32_e32 v16, v8
	v_mov_b32_e32 v15, v7
.LBB1_9:                                ;   in Loop: Header=BB1_3 Depth=1
	s_or_saveexec_b64 s[4:5], s[4:5]
	v_mov_b32_e32 v17, 0
	s_xor_b64 exec, exec, s[4:5]
	s_cbranch_execz .LBB1_11
; %bb.10:                               ;   in Loop: Header=BB1_3 Depth=1
	global_load_dwordx2 v[2:3], v[7:8], off
	v_add_u32_e32 v17, -8, v30
.LBB1_11:                               ;   in Loop: Header=BB1_3 Depth=1
	s_or_b64 exec, exec, s[4:5]
	v_add_co_u32_e64 v9, s[4:5], 8, v15
	v_cmp_gt_u32_e32 vcc, 8, v17
	v_addc_co_u32_e64 v10, s[4:5], 0, v16, s[4:5]
                                        ; implicit-def: $vgpr13_vgpr14
	s_and_saveexec_b64 s[4:5], vcc
	s_xor_b64 s[4:5], exec, s[4:5]
	s_cbranch_execz .LBB1_17
; %bb.12:                               ;   in Loop: Header=BB1_3 Depth=1
	v_mov_b32_e32 v13, 0
	v_mov_b32_e32 v14, 0
	v_cmp_ne_u32_e32 vcc, 0, v17
	s_and_saveexec_b64 s[14:15], vcc
	s_cbranch_execz .LBB1_16
; %bb.13:                               ;   in Loop: Header=BB1_3 Depth=1
	v_mov_b32_e32 v13, 0
	s_mov_b64 s[16:17], 0
	v_mov_b32_e32 v14, 0
	s_mov_b64 s[18:19], 0
	s_mov_b64 s[20:21], 0
.LBB1_14:                               ;   Parent Loop BB1_3 Depth=1
                                        ; =>  This Inner Loop Header: Depth=2
	v_mov_b32_e32 v10, s21
	v_add_co_u32_e32 v9, vcc, s20, v15
	v_addc_co_u32_e32 v10, vcc, v16, v10, vcc
	global_load_ubyte v9, v[9:10], off
	s_add_u32 s20, s20, 1
	v_mov_b32_e32 v10, s22
	s_addc_u32 s21, s21, 0
	v_cmp_eq_u32_e32 vcc, s20, v17
	s_waitcnt vmcnt(0)
	v_and_b32_e32 v9, 0xffff, v9
	v_lshlrev_b64 v[9:10], s18, v[9:10]
	s_add_u32 s18, s18, 8
	s_addc_u32 s19, s19, 0
	v_or_b32_e32 v14, v10, v14
	s_or_b64 s[16:17], vcc, s[16:17]
	v_or_b32_e32 v13, v9, v13
	s_andn2_b64 exec, exec, s[16:17]
	s_cbranch_execnz .LBB1_14
; %bb.15:                               ;   in Loop: Header=BB1_3 Depth=1
	s_or_b64 exec, exec, s[16:17]
.LBB1_16:                               ;   in Loop: Header=BB1_3 Depth=1
	s_or_b64 exec, exec, s[14:15]
	v_mov_b32_e32 v9, v15
	v_mov_b32_e32 v10, v16
                                        ; implicit-def: $vgpr17
.LBB1_17:                               ;   in Loop: Header=BB1_3 Depth=1
	s_or_saveexec_b64 s[4:5], s[4:5]
	v_mov_b32_e32 v18, 0
	s_xor_b64 exec, exec, s[4:5]
	s_cbranch_execz .LBB1_19
; %bb.18:                               ;   in Loop: Header=BB1_3 Depth=1
	global_load_dwordx2 v[13:14], v[15:16], off
	v_add_u32_e32 v18, -8, v17
.LBB1_19:                               ;   in Loop: Header=BB1_3 Depth=1
	s_or_b64 exec, exec, s[4:5]
	v_add_co_u32_e64 v19, s[4:5], 8, v9
	v_cmp_gt_u32_e32 vcc, 8, v18
	v_addc_co_u32_e64 v20, s[4:5], 0, v10, s[4:5]
	s_and_saveexec_b64 s[4:5], vcc
	s_xor_b64 s[4:5], exec, s[4:5]
	s_cbranch_execz .LBB1_25
; %bb.20:                               ;   in Loop: Header=BB1_3 Depth=1
	v_mov_b32_e32 v15, 0
	v_mov_b32_e32 v16, 0
	v_cmp_ne_u32_e32 vcc, 0, v18
	s_and_saveexec_b64 s[14:15], vcc
	s_cbranch_execz .LBB1_24
; %bb.21:                               ;   in Loop: Header=BB1_3 Depth=1
	v_mov_b32_e32 v15, 0
	s_mov_b64 s[16:17], 0
	v_mov_b32_e32 v16, 0
	s_mov_b64 s[18:19], 0
	s_mov_b64 s[20:21], 0
.LBB1_22:                               ;   Parent Loop BB1_3 Depth=1
                                        ; =>  This Inner Loop Header: Depth=2
	v_mov_b32_e32 v17, s21
	v_add_co_u32_e32 v19, vcc, s20, v9
	v_addc_co_u32_e32 v20, vcc, v10, v17, vcc
	global_load_ubyte v17, v[19:20], off
	s_add_u32 s20, s20, 1
	v_mov_b32_e32 v20, s22
	s_addc_u32 s21, s21, 0
	v_cmp_eq_u32_e32 vcc, s20, v18
	s_waitcnt vmcnt(0)
	v_and_b32_e32 v19, 0xffff, v17
	v_lshlrev_b64 v[19:20], s18, v[19:20]
	s_add_u32 s18, s18, 8
	s_addc_u32 s19, s19, 0
	v_or_b32_e32 v16, v20, v16
	s_or_b64 s[16:17], vcc, s[16:17]
	v_or_b32_e32 v15, v19, v15
	s_andn2_b64 exec, exec, s[16:17]
	s_cbranch_execnz .LBB1_22
; %bb.23:                               ;   in Loop: Header=BB1_3 Depth=1
	s_or_b64 exec, exec, s[16:17]
.LBB1_24:                               ;   in Loop: Header=BB1_3 Depth=1
	s_or_b64 exec, exec, s[14:15]
	v_mov_b32_e32 v20, v10
	v_mov_b32_e32 v19, v9
                                        ; implicit-def: $vgpr18
.LBB1_25:                               ;   in Loop: Header=BB1_3 Depth=1
	s_or_saveexec_b64 s[4:5], s[4:5]
	v_mov_b32_e32 v21, 0
	s_xor_b64 exec, exec, s[4:5]
	s_cbranch_execz .LBB1_27
; %bb.26:                               ;   in Loop: Header=BB1_3 Depth=1
	global_load_dwordx2 v[15:16], v[9:10], off
	v_add_u32_e32 v21, -8, v18
.LBB1_27:                               ;   in Loop: Header=BB1_3 Depth=1
	s_or_b64 exec, exec, s[4:5]
	v_add_co_u32_e64 v9, s[4:5], 8, v19
	v_cmp_gt_u32_e32 vcc, 8, v21
	v_addc_co_u32_e64 v10, s[4:5], 0, v20, s[4:5]
                                        ; implicit-def: $vgpr17_vgpr18
	s_and_saveexec_b64 s[4:5], vcc
	s_xor_b64 s[4:5], exec, s[4:5]
	s_cbranch_execz .LBB1_33
; %bb.28:                               ;   in Loop: Header=BB1_3 Depth=1
	v_mov_b32_e32 v17, 0
	v_mov_b32_e32 v18, 0
	v_cmp_ne_u32_e32 vcc, 0, v21
	s_and_saveexec_b64 s[14:15], vcc
	s_cbranch_execz .LBB1_32
; %bb.29:                               ;   in Loop: Header=BB1_3 Depth=1
	v_mov_b32_e32 v17, 0
	s_mov_b64 s[16:17], 0
	v_mov_b32_e32 v18, 0
	s_mov_b64 s[18:19], 0
	s_mov_b64 s[20:21], 0
.LBB1_30:                               ;   Parent Loop BB1_3 Depth=1
                                        ; =>  This Inner Loop Header: Depth=2
	v_mov_b32_e32 v10, s21
	v_add_co_u32_e32 v9, vcc, s20, v19
	v_addc_co_u32_e32 v10, vcc, v20, v10, vcc
	global_load_ubyte v9, v[9:10], off
	s_add_u32 s20, s20, 1
	v_mov_b32_e32 v10, s22
	s_addc_u32 s21, s21, 0
	v_cmp_eq_u32_e32 vcc, s20, v21
	s_waitcnt vmcnt(0)
	v_and_b32_e32 v9, 0xffff, v9
	v_lshlrev_b64 v[9:10], s18, v[9:10]
	s_add_u32 s18, s18, 8
	s_addc_u32 s19, s19, 0
	v_or_b32_e32 v18, v10, v18
	s_or_b64 s[16:17], vcc, s[16:17]
	v_or_b32_e32 v17, v9, v17
	s_andn2_b64 exec, exec, s[16:17]
	s_cbranch_execnz .LBB1_30
; %bb.31:                               ;   in Loop: Header=BB1_3 Depth=1
	s_or_b64 exec, exec, s[16:17]
.LBB1_32:                               ;   in Loop: Header=BB1_3 Depth=1
	s_or_b64 exec, exec, s[14:15]
	v_mov_b32_e32 v9, v19
	v_mov_b32_e32 v10, v20
                                        ; implicit-def: $vgpr21
.LBB1_33:                               ;   in Loop: Header=BB1_3 Depth=1
	s_or_saveexec_b64 s[4:5], s[4:5]
	v_mov_b32_e32 v22, 0
	s_xor_b64 exec, exec, s[4:5]
	s_cbranch_execz .LBB1_35
; %bb.34:                               ;   in Loop: Header=BB1_3 Depth=1
	global_load_dwordx2 v[17:18], v[19:20], off
	v_add_u32_e32 v22, -8, v21
.LBB1_35:                               ;   in Loop: Header=BB1_3 Depth=1
	s_or_b64 exec, exec, s[4:5]
	v_add_co_u32_e64 v23, s[4:5], 8, v9
	v_cmp_gt_u32_e32 vcc, 8, v22
	v_addc_co_u32_e64 v24, s[4:5], 0, v10, s[4:5]
	s_and_saveexec_b64 s[4:5], vcc
	s_xor_b64 s[4:5], exec, s[4:5]
	s_cbranch_execz .LBB1_41
; %bb.36:                               ;   in Loop: Header=BB1_3 Depth=1
	v_mov_b32_e32 v19, 0
	v_mov_b32_e32 v20, 0
	v_cmp_ne_u32_e32 vcc, 0, v22
	s_and_saveexec_b64 s[14:15], vcc
	s_cbranch_execz .LBB1_40
; %bb.37:                               ;   in Loop: Header=BB1_3 Depth=1
	v_mov_b32_e32 v19, 0
	s_mov_b64 s[16:17], 0
	v_mov_b32_e32 v20, 0
	s_mov_b64 s[18:19], 0
	s_mov_b64 s[20:21], 0
.LBB1_38:                               ;   Parent Loop BB1_3 Depth=1
                                        ; =>  This Inner Loop Header: Depth=2
	v_mov_b32_e32 v21, s21
	v_add_co_u32_e32 v23, vcc, s20, v9
	v_addc_co_u32_e32 v24, vcc, v10, v21, vcc
	global_load_ubyte v21, v[23:24], off
	s_add_u32 s20, s20, 1
	v_mov_b32_e32 v24, s22
	s_addc_u32 s21, s21, 0
	v_cmp_eq_u32_e32 vcc, s20, v22
	s_waitcnt vmcnt(0)
	v_and_b32_e32 v23, 0xffff, v21
	v_lshlrev_b64 v[23:24], s18, v[23:24]
	s_add_u32 s18, s18, 8
	s_addc_u32 s19, s19, 0
	v_or_b32_e32 v20, v24, v20
	s_or_b64 s[16:17], vcc, s[16:17]
	v_or_b32_e32 v19, v23, v19
	s_andn2_b64 exec, exec, s[16:17]
	s_cbranch_execnz .LBB1_38
; %bb.39:                               ;   in Loop: Header=BB1_3 Depth=1
	s_or_b64 exec, exec, s[16:17]
.LBB1_40:                               ;   in Loop: Header=BB1_3 Depth=1
	s_or_b64 exec, exec, s[14:15]
	v_mov_b32_e32 v24, v10
	v_mov_b32_e32 v23, v9
                                        ; implicit-def: $vgpr22
.LBB1_41:                               ;   in Loop: Header=BB1_3 Depth=1
	s_or_saveexec_b64 s[4:5], s[4:5]
	v_mov_b32_e32 v25, 0
	s_xor_b64 exec, exec, s[4:5]
	s_cbranch_execz .LBB1_43
; %bb.42:                               ;   in Loop: Header=BB1_3 Depth=1
	global_load_dwordx2 v[19:20], v[9:10], off
	v_add_u32_e32 v25, -8, v22
.LBB1_43:                               ;   in Loop: Header=BB1_3 Depth=1
	s_or_b64 exec, exec, s[4:5]
	v_add_co_u32_e64 v9, s[4:5], 8, v23
	v_cmp_gt_u32_e32 vcc, 8, v25
	v_addc_co_u32_e64 v10, s[4:5], 0, v24, s[4:5]
                                        ; implicit-def: $vgpr21_vgpr22
	s_and_saveexec_b64 s[4:5], vcc
	s_xor_b64 s[4:5], exec, s[4:5]
	s_cbranch_execz .LBB1_49
; %bb.44:                               ;   in Loop: Header=BB1_3 Depth=1
	v_mov_b32_e32 v21, 0
	v_mov_b32_e32 v22, 0
	v_cmp_ne_u32_e32 vcc, 0, v25
	s_and_saveexec_b64 s[14:15], vcc
	s_cbranch_execz .LBB1_48
; %bb.45:                               ;   in Loop: Header=BB1_3 Depth=1
	v_mov_b32_e32 v21, 0
	s_mov_b64 s[16:17], 0
	v_mov_b32_e32 v22, 0
	s_mov_b64 s[18:19], 0
	s_mov_b64 s[20:21], 0
.LBB1_46:                               ;   Parent Loop BB1_3 Depth=1
                                        ; =>  This Inner Loop Header: Depth=2
	v_mov_b32_e32 v10, s21
	v_add_co_u32_e32 v9, vcc, s20, v23
	v_addc_co_u32_e32 v10, vcc, v24, v10, vcc
	global_load_ubyte v9, v[9:10], off
	s_add_u32 s20, s20, 1
	v_mov_b32_e32 v10, s22
	s_addc_u32 s21, s21, 0
	v_cmp_eq_u32_e32 vcc, s20, v25
	s_waitcnt vmcnt(0)
	v_and_b32_e32 v9, 0xffff, v9
	v_lshlrev_b64 v[9:10], s18, v[9:10]
	s_add_u32 s18, s18, 8
	s_addc_u32 s19, s19, 0
	v_or_b32_e32 v22, v10, v22
	s_or_b64 s[16:17], vcc, s[16:17]
	v_or_b32_e32 v21, v9, v21
	s_andn2_b64 exec, exec, s[16:17]
	s_cbranch_execnz .LBB1_46
; %bb.47:                               ;   in Loop: Header=BB1_3 Depth=1
	s_or_b64 exec, exec, s[16:17]
.LBB1_48:                               ;   in Loop: Header=BB1_3 Depth=1
	s_or_b64 exec, exec, s[14:15]
	v_mov_b32_e32 v9, v23
	v_mov_b32_e32 v10, v24
                                        ; implicit-def: $vgpr25
.LBB1_49:                               ;   in Loop: Header=BB1_3 Depth=1
	s_or_saveexec_b64 s[4:5], s[4:5]
	v_mov_b32_e32 v26, 0
	s_xor_b64 exec, exec, s[4:5]
	s_cbranch_execz .LBB1_51
; %bb.50:                               ;   in Loop: Header=BB1_3 Depth=1
	global_load_dwordx2 v[21:22], v[23:24], off
	v_add_u32_e32 v26, -8, v25
.LBB1_51:                               ;   in Loop: Header=BB1_3 Depth=1
	s_or_b64 exec, exec, s[4:5]
	v_cmp_gt_u32_e32 vcc, 8, v26
	s_and_saveexec_b64 s[4:5], vcc
	s_xor_b64 s[4:5], exec, s[4:5]
	s_cbranch_execz .LBB1_57
; %bb.52:                               ;   in Loop: Header=BB1_3 Depth=1
	v_mov_b32_e32 v23, 0
	v_mov_b32_e32 v24, 0
	v_cmp_ne_u32_e32 vcc, 0, v26
	s_and_saveexec_b64 s[14:15], vcc
	s_cbranch_execz .LBB1_56
; %bb.53:                               ;   in Loop: Header=BB1_3 Depth=1
	v_mov_b32_e32 v23, 0
	s_mov_b64 s[16:17], 0
	v_mov_b32_e32 v24, 0
	s_mov_b64 s[18:19], 0
.LBB1_54:                               ;   Parent Loop BB1_3 Depth=1
                                        ; =>  This Inner Loop Header: Depth=2
	global_load_ubyte v25, v[9:10], off
	v_mov_b32_e32 v28, s22
	v_add_co_u32_e32 v9, vcc, 1, v9
	v_add_u32_e32 v26, -1, v26
	v_addc_co_u32_e32 v10, vcc, 0, v10, vcc
	v_cmp_eq_u32_e32 vcc, 0, v26
	s_waitcnt vmcnt(0)
	v_and_b32_e32 v27, 0xffff, v25
	v_lshlrev_b64 v[27:28], s18, v[27:28]
	s_add_u32 s18, s18, 8
	s_addc_u32 s19, s19, 0
	v_or_b32_e32 v24, v28, v24
	s_or_b64 s[16:17], vcc, s[16:17]
	v_or_b32_e32 v23, v27, v23
	s_andn2_b64 exec, exec, s[16:17]
	s_cbranch_execnz .LBB1_54
; %bb.55:                               ;   in Loop: Header=BB1_3 Depth=1
	s_or_b64 exec, exec, s[16:17]
.LBB1_56:                               ;   in Loop: Header=BB1_3 Depth=1
	s_or_b64 exec, exec, s[14:15]
                                        ; implicit-def: $vgpr9_vgpr10
.LBB1_57:                               ;   in Loop: Header=BB1_3 Depth=1
	s_andn2_saveexec_b64 s[4:5], s[4:5]
	s_cbranch_execz .LBB1_59
; %bb.58:                               ;   in Loop: Header=BB1_3 Depth=1
	global_load_dwordx2 v[23:24], v[9:10], off
.LBB1_59:                               ;   in Loop: Header=BB1_3 Depth=1
	s_or_b64 exec, exec, s[4:5]
	v_readfirstlane_b32 s4, v34
	v_mov_b32_e32 v9, 0
	v_mov_b32_e32 v10, 0
	v_cmp_eq_u32_e64 s[4:5], s4, v34
	s_and_saveexec_b64 s[14:15], s[4:5]
	s_cbranch_execz .LBB1_65
; %bb.60:                               ;   in Loop: Header=BB1_3 Depth=1
	s_waitcnt lgkmcnt(0)
	global_load_dwordx2 v[27:28], v29, s[12:13] offset:24 glc
	s_waitcnt vmcnt(0)
	buffer_wbinvl1_vol
	global_load_dwordx2 v[9:10], v29, s[12:13] offset:40
	global_load_dwordx2 v[25:26], v29, s[12:13]
	s_waitcnt vmcnt(1)
	v_and_b32_e32 v9, v9, v27
	v_and_b32_e32 v10, v10, v28
	v_mul_lo_u32 v10, v10, 24
	v_mul_hi_u32 v32, v9, 24
	v_mul_lo_u32 v9, v9, 24
	v_add_u32_e32 v10, v32, v10
	s_waitcnt vmcnt(0)
	v_add_co_u32_e32 v9, vcc, v25, v9
	v_addc_co_u32_e32 v10, vcc, v26, v10, vcc
	global_load_dwordx2 v[25:26], v[9:10], off glc
	s_waitcnt vmcnt(0)
	global_atomic_cmpswap_x2 v[9:10], v29, v[25:28], s[12:13] offset:24 glc
	s_waitcnt vmcnt(0)
	buffer_wbinvl1_vol
	v_cmp_ne_u64_e32 vcc, v[9:10], v[27:28]
	s_and_saveexec_b64 s[16:17], vcc
	s_cbranch_execz .LBB1_64
; %bb.61:                               ;   in Loop: Header=BB1_3 Depth=1
	s_mov_b64 s[18:19], 0
.LBB1_62:                               ;   Parent Loop BB1_3 Depth=1
                                        ; =>  This Inner Loop Header: Depth=2
	s_sleep 1
	global_load_dwordx2 v[25:26], v29, s[12:13] offset:40
	global_load_dwordx2 v[32:33], v29, s[12:13]
	v_mov_b32_e32 v28, v10
	v_mov_b32_e32 v27, v9
	s_waitcnt vmcnt(1)
	v_and_b32_e32 v9, v25, v27
	s_waitcnt vmcnt(0)
	v_mad_u64_u32 v[9:10], s[20:21], v9, 24, v[32:33]
	v_and_b32_e32 v25, v26, v28
	v_mad_u64_u32 v[25:26], s[20:21], v25, 24, v[10:11]
	v_mov_b32_e32 v10, v25
	global_load_dwordx2 v[25:26], v[9:10], off glc
	s_waitcnt vmcnt(0)
	global_atomic_cmpswap_x2 v[9:10], v29, v[25:28], s[12:13] offset:24 glc
	s_waitcnt vmcnt(0)
	buffer_wbinvl1_vol
	v_cmp_eq_u64_e32 vcc, v[9:10], v[27:28]
	s_or_b64 s[18:19], vcc, s[18:19]
	s_andn2_b64 exec, exec, s[18:19]
	s_cbranch_execnz .LBB1_62
; %bb.63:                               ;   in Loop: Header=BB1_3 Depth=1
	s_or_b64 exec, exec, s[18:19]
.LBB1_64:                               ;   in Loop: Header=BB1_3 Depth=1
	s_or_b64 exec, exec, s[16:17]
.LBB1_65:                               ;   in Loop: Header=BB1_3 Depth=1
	s_or_b64 exec, exec, s[14:15]
	s_waitcnt lgkmcnt(0)
	global_load_dwordx2 v[32:33], v29, s[12:13] offset:40
	global_load_dwordx4 v[25:28], v29, s[12:13]
	v_readfirstlane_b32 s15, v10
	v_readfirstlane_b32 s14, v9
	s_mov_b64 s[16:17], exec
	s_waitcnt vmcnt(1)
	v_readfirstlane_b32 s18, v32
	v_readfirstlane_b32 s19, v33
	s_and_b64 s[18:19], s[18:19], s[14:15]
	s_mul_i32 s20, s19, 24
	s_mul_hi_u32 s21, s18, 24
	s_mul_i32 s24, s18, 24
	s_add_i32 s20, s21, s20
	v_mov_b32_e32 v9, s20
	s_waitcnt vmcnt(0)
	v_add_co_u32_e32 v32, vcc, s24, v25
	v_addc_co_u32_e32 v33, vcc, v26, v9, vcc
	s_and_saveexec_b64 s[20:21], s[4:5]
	s_cbranch_execz .LBB1_67
; %bb.66:                               ;   in Loop: Header=BB1_3 Depth=1
	v_mov_b32_e32 v9, s16
	v_mov_b32_e32 v10, s17
	global_store_dwordx4 v[32:33], v[9:12], off offset:8
.LBB1_67:                               ;   in Loop: Header=BB1_3 Depth=1
	s_or_b64 exec, exec, s[20:21]
	s_lshl_b64 s[16:17], s[18:19], 12
	v_mov_b32_e32 v9, s17
	v_add_co_u32_e32 v27, vcc, s16, v27
	v_addc_co_u32_e32 v35, vcc, v28, v9, vcc
	v_cmp_gt_u64_e32 vcc, 57, v[4:5]
	v_and_b32_e32 v0, 0xffffff1f, v0
	v_cndmask_b32_e32 v9, 0, v6, vcc
	v_lshl_add_u32 v10, v30, 2, 28
	v_or_b32_e32 v0, v0, v9
	v_and_or_b32 v0, v10, s23, v0
	v_lshlrev_b32_e32 v36, 6, v34
	v_readfirstlane_b32 s16, v27
	v_readfirstlane_b32 s17, v35
	s_nop 4
	global_store_dwordx4 v36, v[0:3], s[16:17]
	global_store_dwordx4 v36, v[13:16], s[16:17] offset:16
	global_store_dwordx4 v36, v[17:20], s[16:17] offset:32
	;; [unrolled: 1-line block ×3, first 2 shown]
	s_and_saveexec_b64 s[16:17], s[4:5]
	s_cbranch_execz .LBB1_75
; %bb.68:                               ;   in Loop: Header=BB1_3 Depth=1
	global_load_dwordx2 v[15:16], v29, s[12:13] offset:32 glc
	global_load_dwordx2 v[0:1], v29, s[12:13] offset:40
	v_mov_b32_e32 v13, s14
	v_mov_b32_e32 v14, s15
	s_waitcnt vmcnt(0)
	v_readfirstlane_b32 s18, v0
	v_readfirstlane_b32 s19, v1
	s_and_b64 s[18:19], s[18:19], s[14:15]
	s_mul_i32 s19, s19, 24
	s_mul_hi_u32 s20, s18, 24
	s_mul_i32 s18, s18, 24
	s_add_i32 s19, s20, s19
	v_mov_b32_e32 v0, s19
	v_add_co_u32_e32 v9, vcc, s18, v25
	v_addc_co_u32_e32 v10, vcc, v26, v0, vcc
	global_store_dwordx2 v[9:10], v[15:16], off
	s_waitcnt vmcnt(0)
	global_atomic_cmpswap_x2 v[2:3], v29, v[13:16], s[12:13] offset:32 glc
	s_waitcnt vmcnt(0)
	v_cmp_ne_u64_e32 vcc, v[2:3], v[15:16]
	s_and_saveexec_b64 s[18:19], vcc
	s_cbranch_execz .LBB1_71
; %bb.69:                               ;   in Loop: Header=BB1_3 Depth=1
	s_mov_b64 s[20:21], 0
.LBB1_70:                               ;   Parent Loop BB1_3 Depth=1
                                        ; =>  This Inner Loop Header: Depth=2
	s_sleep 1
	global_store_dwordx2 v[9:10], v[2:3], off
	v_mov_b32_e32 v0, s14
	v_mov_b32_e32 v1, s15
	s_waitcnt vmcnt(0)
	global_atomic_cmpswap_x2 v[0:1], v29, v[0:3], s[12:13] offset:32 glc
	s_waitcnt vmcnt(0)
	v_cmp_eq_u64_e32 vcc, v[0:1], v[2:3]
	v_mov_b32_e32 v3, v1
	s_or_b64 s[20:21], vcc, s[20:21]
	v_mov_b32_e32 v2, v0
	s_andn2_b64 exec, exec, s[20:21]
	s_cbranch_execnz .LBB1_70
.LBB1_71:                               ;   in Loop: Header=BB1_3 Depth=1
	s_or_b64 exec, exec, s[18:19]
	global_load_dwordx2 v[0:1], v29, s[12:13] offset:16
	s_mov_b64 s[20:21], exec
	v_mbcnt_lo_u32_b32 v2, s20, 0
	v_mbcnt_hi_u32_b32 v2, s21, v2
	v_cmp_eq_u32_e32 vcc, 0, v2
	s_and_saveexec_b64 s[18:19], vcc
	s_cbranch_execz .LBB1_73
; %bb.72:                               ;   in Loop: Header=BB1_3 Depth=1
	s_bcnt1_i32_b64 s20, s[20:21]
	v_mov_b32_e32 v28, s20
	s_waitcnt vmcnt(0)
	global_atomic_add_x2 v[0:1], v[28:29], off offset:8
.LBB1_73:                               ;   in Loop: Header=BB1_3 Depth=1
	s_or_b64 exec, exec, s[18:19]
	s_waitcnt vmcnt(0)
	global_load_dwordx2 v[2:3], v[0:1], off offset:16
	s_waitcnt vmcnt(0)
	v_cmp_eq_u64_e32 vcc, 0, v[2:3]
	s_cbranch_vccnz .LBB1_75
; %bb.74:                               ;   in Loop: Header=BB1_3 Depth=1
	global_load_dword v28, v[0:1], off offset:24
	s_waitcnt vmcnt(0)
	v_readfirstlane_b32 s18, v28
	s_and_b32 m0, s18, 0xffffff
	global_store_dwordx2 v[2:3], v[28:29], off
	s_sendmsg sendmsg(MSG_INTERRUPT)
.LBB1_75:                               ;   in Loop: Header=BB1_3 Depth=1
	s_or_b64 exec, exec, s[16:17]
	v_add_co_u32_e32 v0, vcc, v27, v36
	v_addc_co_u32_e32 v1, vcc, 0, v35, vcc
	s_branch .LBB1_79
.LBB1_76:                               ;   in Loop: Header=BB1_79 Depth=2
	s_or_b64 exec, exec, s[16:17]
	v_readfirstlane_b32 s16, v2
	s_cmp_eq_u32 s16, 0
	s_cbranch_scc1 .LBB1_78
; %bb.77:                               ;   in Loop: Header=BB1_79 Depth=2
	s_sleep 1
	s_cbranch_execnz .LBB1_79
	s_branch .LBB1_81
.LBB1_78:                               ;   in Loop: Header=BB1_3 Depth=1
	s_branch .LBB1_81
.LBB1_79:                               ;   Parent Loop BB1_3 Depth=1
                                        ; =>  This Inner Loop Header: Depth=2
	v_mov_b32_e32 v2, 1
	s_and_saveexec_b64 s[16:17], s[4:5]
	s_cbranch_execz .LBB1_76
; %bb.80:                               ;   in Loop: Header=BB1_79 Depth=2
	global_load_dword v2, v[32:33], off offset:20 glc
	s_waitcnt vmcnt(0)
	buffer_wbinvl1_vol
	v_and_b32_e32 v2, 1, v2
	s_branch .LBB1_76
.LBB1_81:                               ;   in Loop: Header=BB1_3 Depth=1
	global_load_dwordx4 v[0:3], v[0:1], off
	s_and_saveexec_b64 s[16:17], s[4:5]
	s_cbranch_execz .LBB1_2
; %bb.82:                               ;   in Loop: Header=BB1_3 Depth=1
	global_load_dwordx2 v[2:3], v29, s[12:13] offset:40
	global_load_dwordx2 v[17:18], v29, s[12:13] offset:24 glc
	global_load_dwordx2 v[9:10], v29, s[12:13]
	s_waitcnt vmcnt(2)
	v_readfirstlane_b32 s18, v2
	v_readfirstlane_b32 s19, v3
	s_add_u32 s20, s18, 1
	s_addc_u32 s21, s19, 0
	s_add_u32 s4, s20, s14
	s_addc_u32 s5, s21, s15
	s_cmp_eq_u64 s[4:5], 0
	s_cselect_b32 s5, s21, s5
	s_cselect_b32 s4, s20, s4
	s_and_b64 s[14:15], s[4:5], s[18:19]
	s_mul_i32 s15, s15, 24
	s_mul_hi_u32 s18, s14, 24
	s_mul_i32 s14, s14, 24
	s_add_i32 s15, s18, s15
	v_mov_b32_e32 v3, s15
	s_waitcnt vmcnt(0)
	v_add_co_u32_e32 v2, vcc, s14, v9
	v_addc_co_u32_e32 v3, vcc, v10, v3, vcc
	v_mov_b32_e32 v15, s4
	global_store_dwordx2 v[2:3], v[17:18], off
	v_mov_b32_e32 v16, s5
	s_waitcnt vmcnt(0)
	global_atomic_cmpswap_x2 v[15:16], v29, v[15:18], s[12:13] offset:24 glc
	s_waitcnt vmcnt(0)
	v_cmp_ne_u64_e32 vcc, v[15:16], v[17:18]
	s_and_b64 exec, exec, vcc
	s_cbranch_execz .LBB1_2
; %bb.83:                               ;   in Loop: Header=BB1_3 Depth=1
	s_mov_b64 s[14:15], 0
.LBB1_84:                               ;   Parent Loop BB1_3 Depth=1
                                        ; =>  This Inner Loop Header: Depth=2
	s_sleep 1
	global_store_dwordx2 v[2:3], v[15:16], off
	v_mov_b32_e32 v13, s4
	v_mov_b32_e32 v14, s5
	s_waitcnt vmcnt(0)
	global_atomic_cmpswap_x2 v[9:10], v29, v[13:16], s[12:13] offset:24 glc
	s_waitcnt vmcnt(0)
	v_cmp_eq_u64_e32 vcc, v[9:10], v[15:16]
	v_mov_b32_e32 v16, v10
	s_or_b64 s[14:15], vcc, s[14:15]
	v_mov_b32_e32 v15, v9
	s_andn2_b64 exec, exec, s[14:15]
	s_cbranch_execnz .LBB1_84
	s_branch .LBB1_2
.LBB1_85:
	s_or_b64 exec, exec, s[6:7]
                                        ; implicit-def: $vgpr0
                                        ; implicit-def: $vgpr1
                                        ; implicit-def: $vgpr2
.LBB1_86:
	s_andn2_saveexec_b64 s[6:7], s[10:11]
	s_cbranch_execz .LBB1_109
; %bb.87:
	s_load_dwordx2 s[8:9], s[8:9], 0x50
	s_waitcnt vmcnt(0)
	v_mbcnt_hi_u32_b32 v3, -1, v2
	v_readfirstlane_b32 s4, v3
	v_mov_b32_e32 v8, 0
	v_mov_b32_e32 v9, 0
	v_cmp_eq_u32_e64 s[4:5], s4, v3
	s_and_saveexec_b64 s[10:11], s[4:5]
	s_cbranch_execz .LBB1_93
; %bb.88:
	v_mov_b32_e32 v2, 0
	s_waitcnt lgkmcnt(0)
	global_load_dwordx2 v[6:7], v2, s[8:9] offset:24 glc
	s_waitcnt vmcnt(0)
	buffer_wbinvl1_vol
	global_load_dwordx2 v[4:5], v2, s[8:9] offset:40
	global_load_dwordx2 v[8:9], v2, s[8:9]
	s_waitcnt vmcnt(1)
	v_and_b32_e32 v4, v4, v6
	v_and_b32_e32 v5, v5, v7
	v_mul_lo_u32 v5, v5, 24
	v_mul_hi_u32 v10, v4, 24
	v_mul_lo_u32 v4, v4, 24
	v_add_u32_e32 v5, v10, v5
	s_waitcnt vmcnt(0)
	v_add_co_u32_e32 v4, vcc, v8, v4
	v_addc_co_u32_e32 v5, vcc, v9, v5, vcc
	global_load_dwordx2 v[4:5], v[4:5], off glc
	s_waitcnt vmcnt(0)
	global_atomic_cmpswap_x2 v[8:9], v2, v[4:7], s[8:9] offset:24 glc
	s_waitcnt vmcnt(0)
	buffer_wbinvl1_vol
	v_cmp_ne_u64_e32 vcc, v[8:9], v[6:7]
	s_and_saveexec_b64 s[12:13], vcc
	s_cbranch_execz .LBB1_92
; %bb.89:
	s_mov_b64 s[14:15], 0
.LBB1_90:                               ; =>This Inner Loop Header: Depth=1
	s_sleep 1
	global_load_dwordx2 v[4:5], v2, s[8:9] offset:40
	global_load_dwordx2 v[10:11], v2, s[8:9]
	v_mov_b32_e32 v6, v8
	v_mov_b32_e32 v7, v9
	s_waitcnt vmcnt(1)
	v_and_b32_e32 v4, v4, v6
	s_waitcnt vmcnt(0)
	v_mad_u64_u32 v[8:9], s[16:17], v4, 24, v[10:11]
	v_and_b32_e32 v5, v5, v7
	v_mov_b32_e32 v4, v9
	v_mad_u64_u32 v[4:5], s[16:17], v5, 24, v[4:5]
	v_mov_b32_e32 v9, v4
	global_load_dwordx2 v[4:5], v[8:9], off glc
	s_waitcnt vmcnt(0)
	global_atomic_cmpswap_x2 v[8:9], v2, v[4:7], s[8:9] offset:24 glc
	s_waitcnt vmcnt(0)
	buffer_wbinvl1_vol
	v_cmp_eq_u64_e32 vcc, v[8:9], v[6:7]
	s_or_b64 s[14:15], vcc, s[14:15]
	s_andn2_b64 exec, exec, s[14:15]
	s_cbranch_execnz .LBB1_90
; %bb.91:
	s_or_b64 exec, exec, s[14:15]
.LBB1_92:
	s_or_b64 exec, exec, s[12:13]
.LBB1_93:
	s_or_b64 exec, exec, s[10:11]
	v_mov_b32_e32 v2, 0
	s_waitcnt lgkmcnt(0)
	global_load_dwordx2 v[10:11], v2, s[8:9] offset:40
	global_load_dwordx4 v[4:7], v2, s[8:9]
	v_readfirstlane_b32 s11, v9
	v_readfirstlane_b32 s10, v8
	s_mov_b64 s[12:13], exec
	s_waitcnt vmcnt(1)
	v_readfirstlane_b32 s14, v10
	v_readfirstlane_b32 s15, v11
	s_and_b64 s[14:15], s[14:15], s[10:11]
	s_mul_i32 s16, s15, 24
	s_mul_hi_u32 s17, s14, 24
	s_mul_i32 s18, s14, 24
	s_add_i32 s16, s17, s16
	v_mov_b32_e32 v9, s16
	s_waitcnt vmcnt(0)
	v_add_co_u32_e32 v8, vcc, s18, v4
	v_addc_co_u32_e32 v9, vcc, v5, v9, vcc
	s_and_saveexec_b64 s[16:17], s[4:5]
	s_cbranch_execz .LBB1_95
; %bb.94:
	v_mov_b32_e32 v10, s12
	v_mov_b32_e32 v11, s13
	;; [unrolled: 1-line block ×4, first 2 shown]
	global_store_dwordx4 v[8:9], v[10:13], off offset:8
.LBB1_95:
	s_or_b64 exec, exec, s[16:17]
	s_lshl_b64 s[12:13], s[14:15], 12
	v_mov_b32_e32 v10, s13
	v_add_co_u32_e32 v6, vcc, s12, v6
	v_addc_co_u32_e32 v7, vcc, v7, v10, vcc
	s_movk_i32 s12, 0xff1f
	v_and_or_b32 v0, v0, s12, 32
	v_lshlrev_b32_e32 v10, 6, v3
	s_mov_b32 s12, 0
	v_mov_b32_e32 v3, v2
	v_readfirstlane_b32 s16, v6
	v_readfirstlane_b32 s17, v7
	s_mov_b32 s13, s12
	s_mov_b32 s14, s12
	;; [unrolled: 1-line block ×3, first 2 shown]
	s_nop 1
	global_store_dwordx4 v10, v[0:3], s[16:17]
	s_nop 0
	v_mov_b32_e32 v0, s12
	v_mov_b32_e32 v1, s13
	;; [unrolled: 1-line block ×4, first 2 shown]
	global_store_dwordx4 v10, v[0:3], s[16:17] offset:16
	global_store_dwordx4 v10, v[0:3], s[16:17] offset:32
	;; [unrolled: 1-line block ×3, first 2 shown]
	s_and_saveexec_b64 s[12:13], s[4:5]
	s_cbranch_execz .LBB1_103
; %bb.96:
	v_mov_b32_e32 v6, 0
	global_load_dwordx2 v[12:13], v6, s[8:9] offset:32 glc
	global_load_dwordx2 v[0:1], v6, s[8:9] offset:40
	v_mov_b32_e32 v10, s10
	v_mov_b32_e32 v11, s11
	s_waitcnt vmcnt(0)
	v_and_b32_e32 v0, s10, v0
	v_and_b32_e32 v1, s11, v1
	v_mul_lo_u32 v1, v1, 24
	v_mul_hi_u32 v2, v0, 24
	v_mul_lo_u32 v0, v0, 24
	v_add_u32_e32 v1, v2, v1
	v_add_co_u32_e32 v4, vcc, v4, v0
	v_addc_co_u32_e32 v5, vcc, v5, v1, vcc
	global_store_dwordx2 v[4:5], v[12:13], off
	s_waitcnt vmcnt(0)
	global_atomic_cmpswap_x2 v[2:3], v6, v[10:13], s[8:9] offset:32 glc
	s_waitcnt vmcnt(0)
	v_cmp_ne_u64_e32 vcc, v[2:3], v[12:13]
	s_and_saveexec_b64 s[14:15], vcc
	s_cbranch_execz .LBB1_99
; %bb.97:
	s_mov_b64 s[16:17], 0
.LBB1_98:                               ; =>This Inner Loop Header: Depth=1
	s_sleep 1
	global_store_dwordx2 v[4:5], v[2:3], off
	v_mov_b32_e32 v0, s10
	v_mov_b32_e32 v1, s11
	s_waitcnt vmcnt(0)
	global_atomic_cmpswap_x2 v[0:1], v6, v[0:3], s[8:9] offset:32 glc
	s_waitcnt vmcnt(0)
	v_cmp_eq_u64_e32 vcc, v[0:1], v[2:3]
	v_mov_b32_e32 v3, v1
	s_or_b64 s[16:17], vcc, s[16:17]
	v_mov_b32_e32 v2, v0
	s_andn2_b64 exec, exec, s[16:17]
	s_cbranch_execnz .LBB1_98
.LBB1_99:
	s_or_b64 exec, exec, s[14:15]
	v_mov_b32_e32 v3, 0
	global_load_dwordx2 v[0:1], v3, s[8:9] offset:16
	s_mov_b64 s[14:15], exec
	v_mbcnt_lo_u32_b32 v2, s14, 0
	v_mbcnt_hi_u32_b32 v2, s15, v2
	v_cmp_eq_u32_e32 vcc, 0, v2
	s_and_saveexec_b64 s[16:17], vcc
	s_cbranch_execz .LBB1_101
; %bb.100:
	s_bcnt1_i32_b64 s14, s[14:15]
	v_mov_b32_e32 v2, s14
	s_waitcnt vmcnt(0)
	global_atomic_add_x2 v[0:1], v[2:3], off offset:8
.LBB1_101:
	s_or_b64 exec, exec, s[16:17]
	s_waitcnt vmcnt(0)
	global_load_dwordx2 v[2:3], v[0:1], off offset:16
	s_waitcnt vmcnt(0)
	v_cmp_eq_u64_e32 vcc, 0, v[2:3]
	s_cbranch_vccnz .LBB1_103
; %bb.102:
	global_load_dword v0, v[0:1], off offset:24
	v_mov_b32_e32 v1, 0
	s_waitcnt vmcnt(0)
	v_readfirstlane_b32 s14, v0
	s_and_b32 m0, s14, 0xffffff
	global_store_dwordx2 v[2:3], v[0:1], off
	s_sendmsg sendmsg(MSG_INTERRUPT)
.LBB1_103:
	s_or_b64 exec, exec, s[12:13]
	s_branch .LBB1_107
.LBB1_104:                              ;   in Loop: Header=BB1_107 Depth=1
	s_or_b64 exec, exec, s[12:13]
	v_readfirstlane_b32 s12, v0
	s_cmp_eq_u32 s12, 0
	s_cbranch_scc1 .LBB1_106
; %bb.105:                              ;   in Loop: Header=BB1_107 Depth=1
	s_sleep 1
	s_cbranch_execnz .LBB1_107
	s_branch .LBB1_110
.LBB1_106:
	s_branch .LBB1_110
.LBB1_107:                              ; =>This Inner Loop Header: Depth=1
	v_mov_b32_e32 v0, 1
	s_and_saveexec_b64 s[12:13], s[4:5]
	s_cbranch_execz .LBB1_104
; %bb.108:                              ;   in Loop: Header=BB1_107 Depth=1
	global_load_dword v0, v[8:9], off offset:20 glc
	s_waitcnt vmcnt(0)
	buffer_wbinvl1_vol
	v_and_b32_e32 v0, 1, v0
	s_branch .LBB1_104
.LBB1_109:
	s_or_b64 exec, exec, s[6:7]
	s_waitcnt vmcnt(0) lgkmcnt(0)
	s_setpc_b64 s[30:31]
.LBB1_110:
	s_and_saveexec_b64 s[12:13], s[4:5]
	s_cbranch_execz .LBB1_113
; %bb.111:
	v_mov_b32_e32 v6, 0
	global_load_dwordx2 v[0:1], v6, s[8:9] offset:40
	global_load_dwordx2 v[9:10], v6, s[8:9] offset:24 glc
	global_load_dwordx2 v[2:3], v6, s[8:9]
	s_waitcnt vmcnt(2)
	v_readfirstlane_b32 s14, v0
	v_readfirstlane_b32 s15, v1
	s_add_u32 s16, s14, 1
	s_addc_u32 s17, s15, 0
	s_add_u32 s4, s16, s10
	s_addc_u32 s5, s17, s11
	s_cmp_eq_u64 s[4:5], 0
	s_cselect_b32 s5, s17, s5
	s_cselect_b32 s4, s16, s4
	s_and_b64 s[10:11], s[4:5], s[14:15]
	s_mul_i32 s11, s11, 24
	s_mul_hi_u32 s14, s10, 24
	s_mul_i32 s10, s10, 24
	s_add_i32 s11, s14, s11
	v_mov_b32_e32 v0, s11
	s_waitcnt vmcnt(0)
	v_add_co_u32_e32 v4, vcc, s10, v2
	v_addc_co_u32_e32 v5, vcc, v3, v0, vcc
	v_mov_b32_e32 v7, s4
	global_store_dwordx2 v[4:5], v[9:10], off
	v_mov_b32_e32 v8, s5
	s_waitcnt vmcnt(0)
	global_atomic_cmpswap_x2 v[2:3], v6, v[7:10], s[8:9] offset:24 glc
	s_mov_b64 s[10:11], 0
	s_waitcnt vmcnt(0)
	v_cmp_ne_u64_e32 vcc, v[2:3], v[9:10]
	s_and_b64 exec, exec, vcc
	s_cbranch_execz .LBB1_113
.LBB1_112:                              ; =>This Inner Loop Header: Depth=1
	s_sleep 1
	global_store_dwordx2 v[4:5], v[2:3], off
	v_mov_b32_e32 v0, s4
	v_mov_b32_e32 v1, s5
	s_waitcnt vmcnt(0)
	global_atomic_cmpswap_x2 v[0:1], v6, v[0:3], s[8:9] offset:24 glc
	s_waitcnt vmcnt(0)
	v_cmp_eq_u64_e32 vcc, v[0:1], v[2:3]
	v_mov_b32_e32 v3, v1
	s_or_b64 s[10:11], vcc, s[10:11]
	v_mov_b32_e32 v2, v0
	s_andn2_b64 exec, exec, s[10:11]
	s_cbranch_execnz .LBB1_112
.LBB1_113:
	s_or_b64 exec, exec, s[12:13]
	s_or_b64 exec, exec, s[6:7]
	s_waitcnt vmcnt(0) lgkmcnt(0)
	s_setpc_b64 s[30:31]
.Lfunc_end1:
	.size	__ockl_fprintf_append_string_n, .Lfunc_end1-__ockl_fprintf_append_string_n
                                        ; -- End function
	.set .L__ockl_fprintf_append_string_n.num_vgpr, 37
	.set .L__ockl_fprintf_append_string_n.num_agpr, 0
	.set .L__ockl_fprintf_append_string_n.numbered_sgpr, 32
	.set .L__ockl_fprintf_append_string_n.num_named_barrier, 0
	.set .L__ockl_fprintf_append_string_n.private_seg_size, 0
	.set .L__ockl_fprintf_append_string_n.uses_vcc, 1
	.set .L__ockl_fprintf_append_string_n.uses_flat_scratch, 0
	.set .L__ockl_fprintf_append_string_n.has_dyn_sized_stack, 0
	.set .L__ockl_fprintf_append_string_n.has_recursion, 0
	.set .L__ockl_fprintf_append_string_n.has_indirect_call, 0
	.section	.AMDGPU.csdata,"",@progbits
; Function info:
; codeLenInByte = 3868
; TotalNumSgprs: 36
; NumVgprs: 37
; ScratchSize: 0
; MemoryBound: 0
	.text
	.p2align	2                               ; -- Begin function __assert_fail
	.type	__assert_fail,@function
__assert_fail:                          ; @__assert_fail
; %bb.0:
	s_waitcnt vmcnt(0) expcnt(0) lgkmcnt(0)
	s_mov_b32 s25, s33
	s_mov_b32 s33, s32
	s_or_saveexec_b64 s[4:5], -1
	buffer_store_dword v40, off, s[0:3], s33 offset:48 ; 4-byte Folded Spill
	s_mov_b64 exec, s[4:5]
	v_writelane_b32 v40, s30, 0
	s_addk_i32 s32, 0x1000
	v_writelane_b32 v40, s31, 1
	v_mov_b32_e32 v13, 0
	s_getpc_b64 s[4:5]
	s_add_u32 s4, s4, __const.__assert_fail.fmt@rel32@lo+35
	s_addc_u32 s5, s5, __const.__assert_fail.fmt@rel32@hi+43
	global_load_dwordx4 v[9:12], v13, s[4:5]
	s_getpc_b64 s[16:17]
	s_add_u32 s16, s16, __const.__assert_fail.fmt@rel32@lo+4
	s_addc_u32 s17, s17, __const.__assert_fail.fmt@rel32@hi+12
	s_getpc_b64 s[18:19]
	s_add_u32 s18, s18, __const.__assert_fail.fmt@rel32@lo+20
	s_addc_u32 s19, s19, __const.__assert_fail.fmt@rel32@hi+28
	v_mbcnt_lo_u32_b32 v14, -1, 0
	s_load_dwordx4 s[4:7], s[16:17], 0x0
	s_load_dwordx4 s[12:15], s[18:19], 0x0
	s_load_dwordx2 s[10:11], s[8:9], 0x50
	v_mbcnt_hi_u32_b32 v38, -1, v14
	v_mov_b32_e32 v8, v1
	v_mov_b32_e32 v7, v0
	;; [unrolled: 1-line block ×3, first 2 shown]
	v_readfirstlane_b32 s16, v38
	v_mov_b32_e32 v1, 0
	s_waitcnt lgkmcnt(0)
	v_mov_b32_e32 v14, s7
	v_mov_b32_e32 v16, s5
	;; [unrolled: 1-line block ×3, first 2 shown]
	v_cmp_eq_u32_e64 s[4:5], s16, v38
	v_mov_b32_e32 v15, s6
	v_mov_b32_e32 v18, s15
	;; [unrolled: 1-line block ×5, first 2 shown]
	buffer_store_dword v14, off, s[0:3], s33 offset:12
	buffer_store_dword v15, off, s[0:3], s33 offset:8
	;; [unrolled: 1-line block ×3, first 2 shown]
	buffer_store_dword v17, off, s[0:3], s33
	buffer_store_dword v18, off, s[0:3], s33 offset:28
	buffer_store_dword v19, off, s[0:3], s33 offset:24
	buffer_store_dword v20, off, s[0:3], s33 offset:20
	buffer_store_dword v21, off, s[0:3], s33 offset:16
	s_waitcnt vmcnt(8)
	buffer_store_dword v12, off, s[0:3], s33 offset:43
	buffer_store_dword v11, off, s[0:3], s33 offset:39
	;; [unrolled: 1-line block ×4, first 2 shown]
	s_and_saveexec_b64 s[6:7], s[4:5]
	s_cbranch_execz .LBB2_6
; %bb.1:
	global_load_dwordx2 v[11:12], v13, s[10:11] offset:24 glc
	s_waitcnt vmcnt(0)
	buffer_wbinvl1_vol
	global_load_dwordx2 v[0:1], v13, s[10:11] offset:40
	global_load_dwordx2 v[9:10], v13, s[10:11]
	s_waitcnt vmcnt(1)
	v_and_b32_e32 v0, v0, v11
	v_and_b32_e32 v1, v1, v12
	v_mul_lo_u32 v1, v1, 24
	v_mul_hi_u32 v14, v0, 24
	v_mul_lo_u32 v0, v0, 24
	v_add_u32_e32 v1, v14, v1
	s_waitcnt vmcnt(0)
	v_add_co_u32_e32 v0, vcc, v9, v0
	v_addc_co_u32_e32 v1, vcc, v10, v1, vcc
	global_load_dwordx2 v[9:10], v[0:1], off glc
	s_waitcnt vmcnt(0)
	global_atomic_cmpswap_x2 v[0:1], v13, v[9:12], s[10:11] offset:24 glc
	s_waitcnt vmcnt(0)
	buffer_wbinvl1_vol
	v_cmp_ne_u64_e32 vcc, v[0:1], v[11:12]
	s_and_saveexec_b64 s[12:13], vcc
	s_cbranch_execz .LBB2_5
; %bb.2:
	s_mov_b64 s[14:15], 0
	v_mov_b32_e32 v9, 0
.LBB2_3:                                ; =>This Inner Loop Header: Depth=1
	s_sleep 1
	global_load_dwordx2 v[10:11], v9, s[10:11] offset:40
	global_load_dwordx2 v[14:15], v9, s[10:11]
	v_mov_b32_e32 v17, v1
	v_mov_b32_e32 v16, v0
	s_waitcnt vmcnt(1)
	v_and_b32_e32 v0, v10, v16
	s_waitcnt vmcnt(0)
	v_mad_u64_u32 v[0:1], s[16:17], v0, 24, v[14:15]
	v_and_b32_e32 v10, v11, v17
	v_mad_u64_u32 v[10:11], s[16:17], v10, 24, v[1:2]
	v_mov_b32_e32 v1, v10
	global_load_dwordx2 v[14:15], v[0:1], off glc
	s_waitcnt vmcnt(0)
	global_atomic_cmpswap_x2 v[0:1], v9, v[14:17], s[10:11] offset:24 glc
	s_waitcnt vmcnt(0)
	buffer_wbinvl1_vol
	v_cmp_eq_u64_e32 vcc, v[0:1], v[16:17]
	s_or_b64 s[14:15], vcc, s[14:15]
	s_andn2_b64 exec, exec, s[14:15]
	s_cbranch_execnz .LBB2_3
; %bb.4:
	s_or_b64 exec, exec, s[14:15]
.LBB2_5:
	s_or_b64 exec, exec, s[12:13]
.LBB2_6:
	s_or_b64 exec, exec, s[6:7]
	global_load_dwordx2 v[14:15], v13, s[10:11] offset:40
	global_load_dwordx4 v[9:12], v13, s[10:11]
	v_readfirstlane_b32 s7, v1
	v_readfirstlane_b32 s6, v0
	s_mov_b64 s[12:13], exec
	s_waitcnt vmcnt(1)
	v_readfirstlane_b32 s14, v14
	v_readfirstlane_b32 s15, v15
	s_and_b64 s[14:15], s[14:15], s[6:7]
	s_mul_i32 s16, s15, 24
	s_mul_hi_u32 s17, s14, 24
	s_mul_i32 s18, s14, 24
	s_add_i32 s16, s17, s16
	v_mov_b32_e32 v1, s16
	s_waitcnt vmcnt(0)
	v_add_co_u32_e32 v0, vcc, s18, v9
	v_addc_co_u32_e32 v1, vcc, v10, v1, vcc
	s_and_saveexec_b64 s[16:17], s[4:5]
	s_cbranch_execz .LBB2_8
; %bb.7:
	v_mov_b32_e32 v14, s13
	v_mov_b32_e32 v13, s12
	;; [unrolled: 1-line block ×4, first 2 shown]
	global_store_dwordx4 v[0:1], v[13:16], off offset:8
.LBB2_8:
	s_or_b64 exec, exec, s[16:17]
	s_lshl_b64 s[12:13], s[14:15], 12
	v_mov_b32_e32 v13, s13
	v_add_co_u32_e32 v17, vcc, s12, v11
	v_addc_co_u32_e32 v18, vcc, v12, v13, vcc
	v_lshlrev_b32_e32 v39, 6, v38
	s_mov_b32 s12, 0
	v_add_co_u32_e32 v15, vcc, v17, v39
	s_mov_b32 s15, s12
	v_mov_b32_e32 v12, 0
	v_addc_co_u32_e32 v16, vcc, 0, v18, vcc
	v_readfirstlane_b32 s16, v17
	v_readfirstlane_b32 s17, v18
	s_mov_b32 s13, s12
	s_mov_b32 s14, s12
	v_mov_b32_e32 v20, s15
	v_mov_b32_e32 v11, 33
	;; [unrolled: 1-line block ×7, first 2 shown]
	global_store_dwordx4 v39, v[11:14], s[16:17]
	global_store_dwordx4 v39, v[17:20], s[16:17] offset:16
	global_store_dwordx4 v39, v[17:20], s[16:17] offset:32
	;; [unrolled: 1-line block ×3, first 2 shown]
	s_and_saveexec_b64 s[12:13], s[4:5]
	s_cbranch_execz .LBB2_16
; %bb.9:
	global_load_dwordx2 v[19:20], v12, s[10:11] offset:32 glc
	global_load_dwordx2 v[13:14], v12, s[10:11] offset:40
	v_mov_b32_e32 v17, s6
	v_mov_b32_e32 v18, s7
	s_waitcnt vmcnt(0)
	v_and_b32_e32 v11, s6, v13
	v_and_b32_e32 v13, s7, v14
	v_mul_lo_u32 v13, v13, 24
	v_mul_hi_u32 v14, v11, 24
	v_mul_lo_u32 v11, v11, 24
	v_add_u32_e32 v14, v14, v13
	v_add_co_u32_e32 v13, vcc, v9, v11
	v_addc_co_u32_e32 v14, vcc, v10, v14, vcc
	global_store_dwordx2 v[13:14], v[19:20], off
	s_waitcnt vmcnt(0)
	global_atomic_cmpswap_x2 v[11:12], v12, v[17:20], s[10:11] offset:32 glc
	s_waitcnt vmcnt(0)
	v_cmp_ne_u64_e32 vcc, v[11:12], v[19:20]
	s_and_saveexec_b64 s[14:15], vcc
	s_cbranch_execz .LBB2_12
; %bb.10:
	s_mov_b64 s[16:17], 0
	v_mov_b32_e32 v17, 0
.LBB2_11:                               ; =>This Inner Loop Header: Depth=1
	s_sleep 1
	global_store_dwordx2 v[13:14], v[11:12], off
	v_mov_b32_e32 v9, s6
	v_mov_b32_e32 v10, s7
	s_waitcnt vmcnt(0)
	global_atomic_cmpswap_x2 v[9:10], v17, v[9:12], s[10:11] offset:32 glc
	s_waitcnt vmcnt(0)
	v_cmp_eq_u64_e32 vcc, v[9:10], v[11:12]
	v_mov_b32_e32 v12, v10
	s_or_b64 s[16:17], vcc, s[16:17]
	v_mov_b32_e32 v11, v9
	s_andn2_b64 exec, exec, s[16:17]
	s_cbranch_execnz .LBB2_11
.LBB2_12:
	s_or_b64 exec, exec, s[14:15]
	v_mov_b32_e32 v12, 0
	global_load_dwordx2 v[9:10], v12, s[10:11] offset:16
	s_mov_b64 s[14:15], exec
	v_mbcnt_lo_u32_b32 v11, s14, 0
	v_mbcnt_hi_u32_b32 v11, s15, v11
	v_cmp_eq_u32_e32 vcc, 0, v11
	s_and_saveexec_b64 s[16:17], vcc
	s_cbranch_execz .LBB2_14
; %bb.13:
	s_bcnt1_i32_b64 s14, s[14:15]
	v_mov_b32_e32 v11, s14
	s_waitcnt vmcnt(0)
	global_atomic_add_x2 v[9:10], v[11:12], off offset:8
.LBB2_14:
	s_or_b64 exec, exec, s[16:17]
	s_waitcnt vmcnt(0)
	global_load_dwordx2 v[11:12], v[9:10], off offset:16
	s_waitcnt vmcnt(0)
	v_cmp_eq_u64_e32 vcc, 0, v[11:12]
	s_cbranch_vccnz .LBB2_16
; %bb.15:
	global_load_dword v9, v[9:10], off offset:24
	v_mov_b32_e32 v10, 0
	s_waitcnt vmcnt(0)
	v_readfirstlane_b32 s14, v9
	s_and_b32 m0, s14, 0xffffff
	global_store_dwordx2 v[11:12], v[9:10], off
	s_sendmsg sendmsg(MSG_INTERRUPT)
.LBB2_16:
	s_or_b64 exec, exec, s[12:13]
	s_branch .LBB2_20
.LBB2_17:                               ;   in Loop: Header=BB2_20 Depth=1
	s_or_b64 exec, exec, s[12:13]
	v_readfirstlane_b32 s12, v9
	s_cmp_eq_u32 s12, 0
	s_cbranch_scc1 .LBB2_19
; %bb.18:                               ;   in Loop: Header=BB2_20 Depth=1
	s_sleep 1
	s_cbranch_execnz .LBB2_20
	s_branch .LBB2_22
.LBB2_19:
	s_branch .LBB2_22
.LBB2_20:                               ; =>This Inner Loop Header: Depth=1
	v_mov_b32_e32 v9, 1
	s_and_saveexec_b64 s[12:13], s[4:5]
	s_cbranch_execz .LBB2_17
; %bb.21:                               ;   in Loop: Header=BB2_20 Depth=1
	global_load_dword v9, v[0:1], off offset:20 glc
	s_waitcnt vmcnt(0)
	buffer_wbinvl1_vol
	v_and_b32_e32 v9, 1, v9
	s_branch .LBB2_17
.LBB2_22:
	global_load_dwordx2 v[13:14], v[15:16], off
	s_and_saveexec_b64 s[12:13], s[4:5]
	s_cbranch_execz .LBB2_25
; %bb.23:
	v_mov_b32_e32 v15, 0
	global_load_dwordx2 v[0:1], v15, s[10:11] offset:40
	global_load_dwordx2 v[18:19], v15, s[10:11] offset:24 glc
	global_load_dwordx2 v[9:10], v15, s[10:11]
	s_waitcnt vmcnt(2)
	v_readfirstlane_b32 s14, v0
	v_readfirstlane_b32 s15, v1
	s_add_u32 s16, s14, 1
	s_addc_u32 s17, s15, 0
	s_add_u32 s4, s16, s6
	s_addc_u32 s5, s17, s7
	s_cmp_eq_u64 s[4:5], 0
	s_cselect_b32 s5, s17, s5
	s_cselect_b32 s4, s16, s4
	s_and_b64 s[6:7], s[4:5], s[14:15]
	s_mul_i32 s7, s7, 24
	s_mul_hi_u32 s14, s6, 24
	s_mul_i32 s6, s6, 24
	s_add_i32 s7, s14, s7
	v_mov_b32_e32 v1, s7
	s_waitcnt vmcnt(0)
	v_add_co_u32_e32 v0, vcc, s6, v9
	v_addc_co_u32_e32 v1, vcc, v10, v1, vcc
	v_mov_b32_e32 v16, s4
	global_store_dwordx2 v[0:1], v[18:19], off
	v_mov_b32_e32 v17, s5
	s_waitcnt vmcnt(0)
	global_atomic_cmpswap_x2 v[11:12], v15, v[16:19], s[10:11] offset:24 glc
	s_mov_b64 s[6:7], 0
	s_waitcnt vmcnt(0)
	v_cmp_ne_u64_e32 vcc, v[11:12], v[18:19]
	s_and_b64 exec, exec, vcc
	s_cbranch_execz .LBB2_25
.LBB2_24:                               ; =>This Inner Loop Header: Depth=1
	s_sleep 1
	global_store_dwordx2 v[0:1], v[11:12], off
	v_mov_b32_e32 v9, s4
	v_mov_b32_e32 v10, s5
	s_waitcnt vmcnt(0)
	global_atomic_cmpswap_x2 v[9:10], v15, v[9:12], s[10:11] offset:24 glc
	s_waitcnt vmcnt(0)
	v_cmp_eq_u64_e32 vcc, v[9:10], v[11:12]
	v_mov_b32_e32 v12, v10
	s_or_b64 s[6:7], vcc, s[6:7]
	v_mov_b32_e32 v11, v9
	s_andn2_b64 exec, exec, s[6:7]
	s_cbranch_execnz .LBB2_24
.LBB2_25:
	s_or_b64 exec, exec, s[12:13]
	s_lshr_b32 s6, s33, 6
	s_mov_b64 s[4:5], 0
.LBB2_26:                               ; =>This Inner Loop Header: Depth=1
	v_mov_b32_e32 v0, s6
	buffer_load_ubyte v1, v0, s[0:3], 0 offen
	s_add_i32 s6, s6, 1
	v_mov_b32_e32 v0, s6
	s_waitcnt vmcnt(0)
	v_cmp_eq_u16_e32 vcc, 0, v1
	s_or_b64 s[4:5], vcc, s[4:5]
	s_andn2_b64 exec, exec, s[4:5]
	s_cbranch_execnz .LBB2_26
; %bb.27:
	s_or_b64 exec, exec, s[4:5]
	s_lshr_b32 s4, s33, 6
	s_cmp_lg_u32 s4, -1
	s_cbranch_scc0 .LBB2_112
; %bb.28:
	v_lshrrev_b32_e64 v1, 6, s33
	v_subrev_u32_e32 v0, v1, v0
	v_ashrrev_i32_e32 v1, 31, v0
	v_and_b32_e32 v48, 2, v13
	v_mov_b32_e32 v35, 0
	v_and_b32_e32 v9, -3, v13
	v_mov_b32_e32 v10, v14
	s_mov_b64 s[12:13], 0
	v_lshrrev_b32_e64 v49, 6, s33
	s_mov_b32 s20, 0
	s_movk_i32 s21, 0x1e0
	v_mov_b32_e32 v17, 2
	v_mov_b32_e32 v18, 1
	s_branch .LBB2_30
.LBB2_29:                               ;   in Loop: Header=BB2_30 Depth=1
	s_or_b64 exec, exec, s[6:7]
	v_sub_co_u32_e32 v0, vcc, v0, v50
	v_subb_co_u32_e32 v1, vcc, v1, v51, vcc
	v_cmp_eq_u64_e32 vcc, 0, v[0:1]
	v_add_u32_e32 v49, v49, v50
	s_or_b64 s[12:13], vcc, s[12:13]
	s_andn2_b64 exec, exec, s[12:13]
	s_cbranch_execz .LBB2_113
.LBB2_30:                               ; =>This Loop Header: Depth=1
                                        ;     Child Loop BB2_33 Depth 2
                                        ;     Child Loop BB2_41 Depth 2
	;; [unrolled: 1-line block ×11, first 2 shown]
	v_cmp_gt_u64_e32 vcc, 56, v[0:1]
	v_cmp_gt_u64_e64 s[4:5], 8, v[0:1]
	v_cndmask_b32_e32 v50, 56, v0, vcc
	v_add_u32_e32 v16, 8, v49
	s_and_saveexec_b64 s[6:7], s[4:5]
	s_xor_b64 s[6:7], exec, s[6:7]
	s_cbranch_execz .LBB2_36
; %bb.31:                               ;   in Loop: Header=BB2_30 Depth=1
	v_mov_b32_e32 v11, 0
	v_cmp_ne_u64_e64 s[4:5], 0, v[0:1]
	v_mov_b32_e32 v12, 0
	s_and_saveexec_b64 s[14:15], s[4:5]
	s_cbranch_execz .LBB2_35
; %bb.32:                               ;   in Loop: Header=BB2_30 Depth=1
	v_mov_b32_e32 v11, 0
	s_mov_b32 s22, 0
	s_mov_b64 s[16:17], 0
	v_mov_b32_e32 v12, 0
	s_mov_b64 s[18:19], 0
.LBB2_33:                               ;   Parent Loop BB2_30 Depth=1
                                        ; =>  This Inner Loop Header: Depth=2
	v_add_u32_e32 v15, s22, v49
	buffer_load_ubyte v15, v15, s[0:3], 0 offen
	v_mov_b32_e32 v16, s20
	s_add_i32 s22, s22, 1
	v_cmp_eq_u32_e64 s[4:5], s22, v50
	s_waitcnt vmcnt(0)
	v_and_b32_e32 v15, 0xffff, v15
	v_lshlrev_b64 v[15:16], s18, v[15:16]
	s_add_u32 s18, s18, 8
	s_addc_u32 s19, s19, 0
	v_or_b32_e32 v12, v16, v12
	s_or_b64 s[16:17], s[4:5], s[16:17]
	v_or_b32_e32 v11, v15, v11
	s_andn2_b64 exec, exec, s[16:17]
	s_cbranch_execnz .LBB2_33
; %bb.34:                               ;   in Loop: Header=BB2_30 Depth=1
	s_or_b64 exec, exec, s[16:17]
.LBB2_35:                               ;   in Loop: Header=BB2_30 Depth=1
	s_or_b64 exec, exec, s[14:15]
	v_mov_b32_e32 v16, v49
.LBB2_36:                               ;   in Loop: Header=BB2_30 Depth=1
	s_or_saveexec_b64 s[4:5], s[6:7]
	v_mov_b32_e32 v21, 0
	s_xor_b64 exec, exec, s[4:5]
	s_cbranch_execz .LBB2_38
; %bb.37:                               ;   in Loop: Header=BB2_30 Depth=1
	buffer_load_dword v11, v49, s[0:3], 0 offen
	buffer_load_dword v12, v49, s[0:3], 0 offen offset:4
	v_add_u32_e32 v21, -8, v50
.LBB2_38:                               ;   in Loop: Header=BB2_30 Depth=1
	s_or_b64 exec, exec, s[4:5]
	v_cmp_gt_u32_e64 s[4:5], 8, v21
	v_add_u32_e32 v15, 8, v16
                                        ; implicit-def: $vgpr19_vgpr20
	s_and_saveexec_b64 s[6:7], s[4:5]
	s_xor_b64 s[6:7], exec, s[6:7]
	s_cbranch_execz .LBB2_44
; %bb.39:                               ;   in Loop: Header=BB2_30 Depth=1
	v_mov_b32_e32 v19, 0
	v_mov_b32_e32 v20, 0
	v_cmp_ne_u32_e64 s[4:5], 0, v21
	s_and_saveexec_b64 s[14:15], s[4:5]
	s_cbranch_execz .LBB2_43
; %bb.40:                               ;   in Loop: Header=BB2_30 Depth=1
	v_mov_b32_e32 v19, 0
	s_mov_b32 s22, 0
	s_mov_b64 s[16:17], 0
	v_mov_b32_e32 v20, 0
	s_mov_b64 s[18:19], 0
.LBB2_41:                               ;   Parent Loop BB2_30 Depth=1
                                        ; =>  This Inner Loop Header: Depth=2
	v_add_u32_e32 v15, s22, v16
	buffer_load_ubyte v15, v15, s[0:3], 0 offen
	v_mov_b32_e32 v23, s20
	s_add_i32 s22, s22, 1
	v_cmp_eq_u32_e64 s[4:5], s22, v21
	s_waitcnt vmcnt(0)
	v_and_b32_e32 v22, 0xffff, v15
	v_lshlrev_b64 v[22:23], s18, v[22:23]
	s_add_u32 s18, s18, 8
	s_addc_u32 s19, s19, 0
	v_or_b32_e32 v20, v23, v20
	s_or_b64 s[16:17], s[4:5], s[16:17]
	v_or_b32_e32 v19, v22, v19
	s_andn2_b64 exec, exec, s[16:17]
	s_cbranch_execnz .LBB2_41
; %bb.42:                               ;   in Loop: Header=BB2_30 Depth=1
	s_or_b64 exec, exec, s[16:17]
.LBB2_43:                               ;   in Loop: Header=BB2_30 Depth=1
	s_or_b64 exec, exec, s[14:15]
	v_mov_b32_e32 v15, v16
                                        ; implicit-def: $vgpr21
.LBB2_44:                               ;   in Loop: Header=BB2_30 Depth=1
	s_or_saveexec_b64 s[4:5], s[6:7]
	v_mov_b32_e32 v23, 0
	s_xor_b64 exec, exec, s[4:5]
	s_cbranch_execz .LBB2_46
; %bb.45:                               ;   in Loop: Header=BB2_30 Depth=1
	buffer_load_dword v19, v16, s[0:3], 0 offen
	buffer_load_dword v20, v16, s[0:3], 0 offen offset:4
	v_add_u32_e32 v23, -8, v21
.LBB2_46:                               ;   in Loop: Header=BB2_30 Depth=1
	s_or_b64 exec, exec, s[4:5]
	v_cmp_gt_u32_e64 s[4:5], 8, v23
	v_add_u32_e32 v16, 8, v15
	s_and_saveexec_b64 s[6:7], s[4:5]
	s_xor_b64 s[6:7], exec, s[6:7]
	s_cbranch_execz .LBB2_52
; %bb.47:                               ;   in Loop: Header=BB2_30 Depth=1
	v_mov_b32_e32 v21, 0
	v_mov_b32_e32 v22, 0
	v_cmp_ne_u32_e64 s[4:5], 0, v23
	s_and_saveexec_b64 s[14:15], s[4:5]
	s_cbranch_execz .LBB2_51
; %bb.48:                               ;   in Loop: Header=BB2_30 Depth=1
	v_mov_b32_e32 v21, 0
	s_mov_b32 s22, 0
	s_mov_b64 s[16:17], 0
	v_mov_b32_e32 v22, 0
	s_mov_b64 s[18:19], 0
.LBB2_49:                               ;   Parent Loop BB2_30 Depth=1
                                        ; =>  This Inner Loop Header: Depth=2
	v_add_u32_e32 v16, s22, v15
	buffer_load_ubyte v16, v16, s[0:3], 0 offen
	v_mov_b32_e32 v25, s20
	s_add_i32 s22, s22, 1
	v_cmp_eq_u32_e64 s[4:5], s22, v23
	s_waitcnt vmcnt(0)
	v_and_b32_e32 v24, 0xffff, v16
	v_lshlrev_b64 v[24:25], s18, v[24:25]
	s_add_u32 s18, s18, 8
	s_addc_u32 s19, s19, 0
	v_or_b32_e32 v22, v25, v22
	s_or_b64 s[16:17], s[4:5], s[16:17]
	v_or_b32_e32 v21, v24, v21
	s_andn2_b64 exec, exec, s[16:17]
	s_cbranch_execnz .LBB2_49
; %bb.50:                               ;   in Loop: Header=BB2_30 Depth=1
	s_or_b64 exec, exec, s[16:17]
.LBB2_51:                               ;   in Loop: Header=BB2_30 Depth=1
	s_or_b64 exec, exec, s[14:15]
	v_mov_b32_e32 v16, v15
                                        ; implicit-def: $vgpr23
.LBB2_52:                               ;   in Loop: Header=BB2_30 Depth=1
	s_or_saveexec_b64 s[4:5], s[6:7]
	v_mov_b32_e32 v25, 0
	s_xor_b64 exec, exec, s[4:5]
	s_cbranch_execz .LBB2_54
; %bb.53:                               ;   in Loop: Header=BB2_30 Depth=1
	buffer_load_dword v21, v15, s[0:3], 0 offen
	buffer_load_dword v22, v15, s[0:3], 0 offen offset:4
	v_add_u32_e32 v25, -8, v23
.LBB2_54:                               ;   in Loop: Header=BB2_30 Depth=1
	s_or_b64 exec, exec, s[4:5]
	v_cmp_gt_u32_e64 s[4:5], 8, v25
	v_add_u32_e32 v15, 8, v16
                                        ; implicit-def: $vgpr23_vgpr24
	s_and_saveexec_b64 s[6:7], s[4:5]
	s_xor_b64 s[6:7], exec, s[6:7]
	s_cbranch_execz .LBB2_60
; %bb.55:                               ;   in Loop: Header=BB2_30 Depth=1
	v_mov_b32_e32 v23, 0
	v_mov_b32_e32 v24, 0
	v_cmp_ne_u32_e64 s[4:5], 0, v25
	s_and_saveexec_b64 s[14:15], s[4:5]
	s_cbranch_execz .LBB2_59
; %bb.56:                               ;   in Loop: Header=BB2_30 Depth=1
	v_mov_b32_e32 v23, 0
	s_mov_b32 s22, 0
	s_mov_b64 s[16:17], 0
	v_mov_b32_e32 v24, 0
	s_mov_b64 s[18:19], 0
.LBB2_57:                               ;   Parent Loop BB2_30 Depth=1
                                        ; =>  This Inner Loop Header: Depth=2
	v_add_u32_e32 v15, s22, v16
	buffer_load_ubyte v15, v15, s[0:3], 0 offen
	v_mov_b32_e32 v27, s20
	s_add_i32 s22, s22, 1
	v_cmp_eq_u32_e64 s[4:5], s22, v25
	s_waitcnt vmcnt(0)
	v_and_b32_e32 v26, 0xffff, v15
	v_lshlrev_b64 v[26:27], s18, v[26:27]
	s_add_u32 s18, s18, 8
	s_addc_u32 s19, s19, 0
	v_or_b32_e32 v24, v27, v24
	s_or_b64 s[16:17], s[4:5], s[16:17]
	v_or_b32_e32 v23, v26, v23
	s_andn2_b64 exec, exec, s[16:17]
	s_cbranch_execnz .LBB2_57
; %bb.58:                               ;   in Loop: Header=BB2_30 Depth=1
	s_or_b64 exec, exec, s[16:17]
.LBB2_59:                               ;   in Loop: Header=BB2_30 Depth=1
	s_or_b64 exec, exec, s[14:15]
	v_mov_b32_e32 v15, v16
                                        ; implicit-def: $vgpr25
.LBB2_60:                               ;   in Loop: Header=BB2_30 Depth=1
	s_or_saveexec_b64 s[4:5], s[6:7]
	v_mov_b32_e32 v27, 0
	s_xor_b64 exec, exec, s[4:5]
	s_cbranch_execz .LBB2_62
; %bb.61:                               ;   in Loop: Header=BB2_30 Depth=1
	buffer_load_dword v23, v16, s[0:3], 0 offen
	buffer_load_dword v24, v16, s[0:3], 0 offen offset:4
	v_add_u32_e32 v27, -8, v25
.LBB2_62:                               ;   in Loop: Header=BB2_30 Depth=1
	s_or_b64 exec, exec, s[4:5]
	v_cmp_gt_u32_e64 s[4:5], 8, v27
	v_add_u32_e32 v16, 8, v15
	s_and_saveexec_b64 s[6:7], s[4:5]
	s_xor_b64 s[6:7], exec, s[6:7]
	s_cbranch_execz .LBB2_68
; %bb.63:                               ;   in Loop: Header=BB2_30 Depth=1
	v_mov_b32_e32 v25, 0
	v_mov_b32_e32 v26, 0
	v_cmp_ne_u32_e64 s[4:5], 0, v27
	s_and_saveexec_b64 s[14:15], s[4:5]
	s_cbranch_execz .LBB2_67
; %bb.64:                               ;   in Loop: Header=BB2_30 Depth=1
	v_mov_b32_e32 v25, 0
	s_mov_b32 s22, 0
	s_mov_b64 s[16:17], 0
	v_mov_b32_e32 v26, 0
	s_mov_b64 s[18:19], 0
.LBB2_65:                               ;   Parent Loop BB2_30 Depth=1
                                        ; =>  This Inner Loop Header: Depth=2
	v_add_u32_e32 v16, s22, v15
	buffer_load_ubyte v16, v16, s[0:3], 0 offen
	v_mov_b32_e32 v29, s20
	s_add_i32 s22, s22, 1
	v_cmp_eq_u32_e64 s[4:5], s22, v27
	s_waitcnt vmcnt(0)
	v_and_b32_e32 v28, 0xffff, v16
	v_lshlrev_b64 v[28:29], s18, v[28:29]
	s_add_u32 s18, s18, 8
	s_addc_u32 s19, s19, 0
	v_or_b32_e32 v26, v29, v26
	s_or_b64 s[16:17], s[4:5], s[16:17]
	v_or_b32_e32 v25, v28, v25
	s_andn2_b64 exec, exec, s[16:17]
	s_cbranch_execnz .LBB2_65
; %bb.66:                               ;   in Loop: Header=BB2_30 Depth=1
	s_or_b64 exec, exec, s[16:17]
.LBB2_67:                               ;   in Loop: Header=BB2_30 Depth=1
	s_or_b64 exec, exec, s[14:15]
	v_mov_b32_e32 v16, v15
                                        ; implicit-def: $vgpr27
.LBB2_68:                               ;   in Loop: Header=BB2_30 Depth=1
	s_or_saveexec_b64 s[4:5], s[6:7]
	v_mov_b32_e32 v29, 0
	s_xor_b64 exec, exec, s[4:5]
	s_cbranch_execz .LBB2_70
; %bb.69:                               ;   in Loop: Header=BB2_30 Depth=1
	buffer_load_dword v25, v15, s[0:3], 0 offen
	buffer_load_dword v26, v15, s[0:3], 0 offen offset:4
	v_add_u32_e32 v29, -8, v27
.LBB2_70:                               ;   in Loop: Header=BB2_30 Depth=1
	s_or_b64 exec, exec, s[4:5]
	v_cmp_gt_u32_e64 s[4:5], 8, v29
	v_add_u32_e32 v15, 8, v16
                                        ; implicit-def: $vgpr27_vgpr28
	s_and_saveexec_b64 s[6:7], s[4:5]
	s_xor_b64 s[6:7], exec, s[6:7]
	s_cbranch_execz .LBB2_76
; %bb.71:                               ;   in Loop: Header=BB2_30 Depth=1
	v_mov_b32_e32 v27, 0
	v_mov_b32_e32 v28, 0
	v_cmp_ne_u32_e64 s[4:5], 0, v29
	s_and_saveexec_b64 s[14:15], s[4:5]
	s_cbranch_execz .LBB2_75
; %bb.72:                               ;   in Loop: Header=BB2_30 Depth=1
	v_mov_b32_e32 v27, 0
	s_mov_b32 s22, 0
	s_mov_b64 s[16:17], 0
	v_mov_b32_e32 v28, 0
	s_mov_b64 s[18:19], 0
.LBB2_73:                               ;   Parent Loop BB2_30 Depth=1
                                        ; =>  This Inner Loop Header: Depth=2
	v_add_u32_e32 v15, s22, v16
	buffer_load_ubyte v15, v15, s[0:3], 0 offen
	v_mov_b32_e32 v31, s20
	s_add_i32 s22, s22, 1
	v_cmp_eq_u32_e64 s[4:5], s22, v29
	s_waitcnt vmcnt(0)
	v_and_b32_e32 v30, 0xffff, v15
	v_lshlrev_b64 v[30:31], s18, v[30:31]
	s_add_u32 s18, s18, 8
	s_addc_u32 s19, s19, 0
	v_or_b32_e32 v28, v31, v28
	s_or_b64 s[16:17], s[4:5], s[16:17]
	v_or_b32_e32 v27, v30, v27
	s_andn2_b64 exec, exec, s[16:17]
	s_cbranch_execnz .LBB2_73
; %bb.74:                               ;   in Loop: Header=BB2_30 Depth=1
	s_or_b64 exec, exec, s[16:17]
.LBB2_75:                               ;   in Loop: Header=BB2_30 Depth=1
	s_or_b64 exec, exec, s[14:15]
	v_mov_b32_e32 v15, v16
                                        ; implicit-def: $vgpr29
.LBB2_76:                               ;   in Loop: Header=BB2_30 Depth=1
	s_or_saveexec_b64 s[4:5], s[6:7]
	v_mov_b32_e32 v31, 0
	s_xor_b64 exec, exec, s[4:5]
	s_cbranch_execz .LBB2_78
; %bb.77:                               ;   in Loop: Header=BB2_30 Depth=1
	buffer_load_dword v27, v16, s[0:3], 0 offen
	buffer_load_dword v28, v16, s[0:3], 0 offen offset:4
	v_add_u32_e32 v31, -8, v29
.LBB2_78:                               ;   in Loop: Header=BB2_30 Depth=1
	s_or_b64 exec, exec, s[4:5]
	v_cmp_gt_u32_e64 s[4:5], 8, v31
	s_and_saveexec_b64 s[6:7], s[4:5]
	s_xor_b64 s[6:7], exec, s[6:7]
	s_cbranch_execz .LBB2_84
; %bb.79:                               ;   in Loop: Header=BB2_30 Depth=1
	v_mov_b32_e32 v29, 0
	v_mov_b32_e32 v30, 0
	v_cmp_ne_u32_e64 s[4:5], 0, v31
	s_and_saveexec_b64 s[14:15], s[4:5]
	s_cbranch_execz .LBB2_83
; %bb.80:                               ;   in Loop: Header=BB2_30 Depth=1
	v_mov_b32_e32 v29, 0
	s_mov_b64 s[16:17], 0
	v_mov_b32_e32 v30, 0
	s_mov_b64 s[18:19], 0
.LBB2_81:                               ;   Parent Loop BB2_30 Depth=1
                                        ; =>  This Inner Loop Header: Depth=2
	buffer_load_ubyte v16, v15, s[0:3], 0 offen
	v_mov_b32_e32 v33, s20
	v_add_u32_e32 v31, -1, v31
	v_cmp_eq_u32_e64 s[4:5], 0, v31
	v_add_u32_e32 v15, 1, v15
	s_waitcnt vmcnt(0)
	v_and_b32_e32 v32, 0xffff, v16
	v_lshlrev_b64 v[32:33], s18, v[32:33]
	s_add_u32 s18, s18, 8
	s_addc_u32 s19, s19, 0
	v_or_b32_e32 v30, v33, v30
	s_or_b64 s[16:17], s[4:5], s[16:17]
	v_or_b32_e32 v29, v32, v29
	s_andn2_b64 exec, exec, s[16:17]
	s_cbranch_execnz .LBB2_81
; %bb.82:                               ;   in Loop: Header=BB2_30 Depth=1
	s_or_b64 exec, exec, s[16:17]
.LBB2_83:                               ;   in Loop: Header=BB2_30 Depth=1
	s_or_b64 exec, exec, s[14:15]
                                        ; implicit-def: $vgpr15
.LBB2_84:                               ;   in Loop: Header=BB2_30 Depth=1
	s_andn2_saveexec_b64 s[4:5], s[6:7]
	s_cbranch_execz .LBB2_86
; %bb.85:                               ;   in Loop: Header=BB2_30 Depth=1
	buffer_load_dword v29, v15, s[0:3], 0 offen
	buffer_load_dword v30, v15, s[0:3], 0 offen offset:4
.LBB2_86:                               ;   in Loop: Header=BB2_30 Depth=1
	s_or_b64 exec, exec, s[4:5]
	v_readfirstlane_b32 s4, v38
	v_mov_b32_e32 v15, 0
	v_mov_b32_e32 v16, 0
	v_cmp_eq_u32_e64 s[4:5], s4, v38
	s_and_saveexec_b64 s[14:15], s[4:5]
	s_cbranch_execz .LBB2_92
; %bb.87:                               ;   in Loop: Header=BB2_30 Depth=1
	global_load_dwordx2 v[33:34], v35, s[10:11] offset:24 glc
	s_waitcnt vmcnt(0)
	buffer_wbinvl1_vol
	global_load_dwordx2 v[15:16], v35, s[10:11] offset:40
	global_load_dwordx2 v[31:32], v35, s[10:11]
	s_waitcnt vmcnt(1)
	v_and_b32_e32 v15, v15, v33
	v_and_b32_e32 v16, v16, v34
	v_mul_lo_u32 v16, v16, 24
	v_mul_hi_u32 v36, v15, 24
	v_mul_lo_u32 v15, v15, 24
	v_add_u32_e32 v16, v36, v16
	s_waitcnt vmcnt(0)
	v_add_co_u32_e64 v15, s[6:7], v31, v15
	v_addc_co_u32_e64 v16, s[6:7], v32, v16, s[6:7]
	global_load_dwordx2 v[31:32], v[15:16], off glc
	s_waitcnt vmcnt(0)
	global_atomic_cmpswap_x2 v[15:16], v35, v[31:34], s[10:11] offset:24 glc
	s_waitcnt vmcnt(0)
	buffer_wbinvl1_vol
	v_cmp_ne_u64_e64 s[6:7], v[15:16], v[33:34]
	s_and_saveexec_b64 s[16:17], s[6:7]
	s_cbranch_execz .LBB2_91
; %bb.88:                               ;   in Loop: Header=BB2_30 Depth=1
	s_mov_b64 s[18:19], 0
.LBB2_89:                               ;   Parent Loop BB2_30 Depth=1
                                        ; =>  This Inner Loop Header: Depth=2
	s_sleep 1
	global_load_dwordx2 v[31:32], v35, s[10:11] offset:40
	global_load_dwordx2 v[36:37], v35, s[10:11]
	v_mov_b32_e32 v34, v16
	v_mov_b32_e32 v33, v15
	s_waitcnt vmcnt(1)
	v_and_b32_e32 v15, v31, v33
	s_waitcnt vmcnt(0)
	v_mad_u64_u32 v[15:16], s[6:7], v15, 24, v[36:37]
	v_and_b32_e32 v31, v32, v34
	v_mad_u64_u32 v[31:32], s[6:7], v31, 24, v[16:17]
	v_mov_b32_e32 v16, v31
	global_load_dwordx2 v[31:32], v[15:16], off glc
	s_waitcnt vmcnt(0)
	global_atomic_cmpswap_x2 v[15:16], v35, v[31:34], s[10:11] offset:24 glc
	s_waitcnt vmcnt(0)
	buffer_wbinvl1_vol
	v_cmp_eq_u64_e64 s[6:7], v[15:16], v[33:34]
	s_or_b64 s[18:19], s[6:7], s[18:19]
	s_andn2_b64 exec, exec, s[18:19]
	s_cbranch_execnz .LBB2_89
; %bb.90:                               ;   in Loop: Header=BB2_30 Depth=1
	s_or_b64 exec, exec, s[18:19]
.LBB2_91:                               ;   in Loop: Header=BB2_30 Depth=1
	s_or_b64 exec, exec, s[16:17]
.LBB2_92:                               ;   in Loop: Header=BB2_30 Depth=1
	s_or_b64 exec, exec, s[14:15]
	global_load_dwordx2 v[36:37], v35, s[10:11] offset:40
	global_load_dwordx4 v[31:34], v35, s[10:11]
	v_readfirstlane_b32 s15, v16
	v_readfirstlane_b32 s14, v15
	s_mov_b64 s[16:17], exec
	s_waitcnt vmcnt(1)
	v_readfirstlane_b32 s6, v36
	v_readfirstlane_b32 s7, v37
	s_and_b64 s[18:19], s[6:7], s[14:15]
	s_mul_i32 s6, s19, 24
	s_mul_hi_u32 s7, s18, 24
	s_mul_i32 s22, s18, 24
	s_add_i32 s6, s7, s6
	v_mov_b32_e32 v15, s6
	s_waitcnt vmcnt(0)
	v_add_co_u32_e64 v36, s[6:7], s22, v31
	v_addc_co_u32_e64 v37, s[6:7], v32, v15, s[6:7]
	s_and_saveexec_b64 s[6:7], s[4:5]
	s_cbranch_execz .LBB2_94
; %bb.93:                               ;   in Loop: Header=BB2_30 Depth=1
	v_mov_b32_e32 v15, s16
	v_mov_b32_e32 v16, s17
	global_store_dwordx4 v[36:37], v[15:18], off offset:8
.LBB2_94:                               ;   in Loop: Header=BB2_30 Depth=1
	s_or_b64 exec, exec, s[6:7]
	s_lshl_b64 s[6:7], s[18:19], 12
	v_cndmask_b32_e32 v51, 0, v1, vcc
	v_mov_b32_e32 v15, s7
	v_add_co_u32_e32 v33, vcc, s6, v33
	v_addc_co_u32_e32 v52, vcc, v34, v15, vcc
	v_cmp_gt_u64_e32 vcc, 57, v[0:1]
	v_and_b32_e32 v9, 0xffffff1f, v9
	v_cndmask_b32_e32 v15, 0, v48, vcc
	v_lshl_add_u32 v16, v50, 2, 28
	v_or_b32_e32 v9, v9, v15
	v_and_or_b32 v9, v16, s21, v9
	v_readfirstlane_b32 s6, v33
	v_readfirstlane_b32 s7, v52
	s_nop 4
	global_store_dwordx4 v39, v[9:12], s[6:7]
	global_store_dwordx4 v39, v[19:22], s[6:7] offset:16
	global_store_dwordx4 v39, v[23:26], s[6:7] offset:32
	;; [unrolled: 1-line block ×3, first 2 shown]
	s_and_saveexec_b64 s[6:7], s[4:5]
	s_cbranch_execz .LBB2_102
; %bb.95:                               ;   in Loop: Header=BB2_30 Depth=1
	global_load_dwordx2 v[21:22], v35, s[10:11] offset:32 glc
	global_load_dwordx2 v[9:10], v35, s[10:11] offset:40
	v_mov_b32_e32 v19, s14
	v_mov_b32_e32 v20, s15
	s_waitcnt vmcnt(0)
	v_readfirstlane_b32 s16, v9
	v_readfirstlane_b32 s17, v10
	s_and_b64 s[16:17], s[16:17], s[14:15]
	s_mul_i32 s17, s17, 24
	s_mul_hi_u32 s18, s16, 24
	s_mul_i32 s16, s16, 24
	s_add_i32 s17, s18, s17
	v_mov_b32_e32 v9, s17
	v_add_co_u32_e32 v15, vcc, s16, v31
	v_addc_co_u32_e32 v16, vcc, v32, v9, vcc
	global_store_dwordx2 v[15:16], v[21:22], off
	s_waitcnt vmcnt(0)
	global_atomic_cmpswap_x2 v[11:12], v35, v[19:22], s[10:11] offset:32 glc
	s_waitcnt vmcnt(0)
	v_cmp_ne_u64_e32 vcc, v[11:12], v[21:22]
	s_and_saveexec_b64 s[16:17], vcc
	s_cbranch_execz .LBB2_98
; %bb.96:                               ;   in Loop: Header=BB2_30 Depth=1
	s_mov_b64 s[18:19], 0
.LBB2_97:                               ;   Parent Loop BB2_30 Depth=1
                                        ; =>  This Inner Loop Header: Depth=2
	s_sleep 1
	global_store_dwordx2 v[15:16], v[11:12], off
	v_mov_b32_e32 v9, s14
	v_mov_b32_e32 v10, s15
	s_waitcnt vmcnt(0)
	global_atomic_cmpswap_x2 v[9:10], v35, v[9:12], s[10:11] offset:32 glc
	s_waitcnt vmcnt(0)
	v_cmp_eq_u64_e32 vcc, v[9:10], v[11:12]
	v_mov_b32_e32 v12, v10
	s_or_b64 s[18:19], vcc, s[18:19]
	v_mov_b32_e32 v11, v9
	s_andn2_b64 exec, exec, s[18:19]
	s_cbranch_execnz .LBB2_97
.LBB2_98:                               ;   in Loop: Header=BB2_30 Depth=1
	s_or_b64 exec, exec, s[16:17]
	global_load_dwordx2 v[9:10], v35, s[10:11] offset:16
	s_mov_b64 s[18:19], exec
	v_mbcnt_lo_u32_b32 v11, s18, 0
	v_mbcnt_hi_u32_b32 v11, s19, v11
	v_cmp_eq_u32_e32 vcc, 0, v11
	s_and_saveexec_b64 s[16:17], vcc
	s_cbranch_execz .LBB2_100
; %bb.99:                               ;   in Loop: Header=BB2_30 Depth=1
	s_bcnt1_i32_b64 s18, s[18:19]
	v_mov_b32_e32 v34, s18
	s_waitcnt vmcnt(0)
	global_atomic_add_x2 v[9:10], v[34:35], off offset:8
.LBB2_100:                              ;   in Loop: Header=BB2_30 Depth=1
	s_or_b64 exec, exec, s[16:17]
	s_waitcnt vmcnt(0)
	global_load_dwordx2 v[11:12], v[9:10], off offset:16
	s_waitcnt vmcnt(0)
	v_cmp_eq_u64_e32 vcc, 0, v[11:12]
	s_cbranch_vccnz .LBB2_102
; %bb.101:                              ;   in Loop: Header=BB2_30 Depth=1
	global_load_dword v34, v[9:10], off offset:24
	s_waitcnt vmcnt(0)
	v_readfirstlane_b32 s16, v34
	s_and_b32 m0, s16, 0xffffff
	global_store_dwordx2 v[11:12], v[34:35], off
	s_sendmsg sendmsg(MSG_INTERRUPT)
.LBB2_102:                              ;   in Loop: Header=BB2_30 Depth=1
	s_or_b64 exec, exec, s[6:7]
	v_add_co_u32_e32 v9, vcc, v33, v39
	v_addc_co_u32_e32 v10, vcc, 0, v52, vcc
	s_branch .LBB2_106
.LBB2_103:                              ;   in Loop: Header=BB2_106 Depth=2
	s_or_b64 exec, exec, s[6:7]
	v_readfirstlane_b32 s6, v11
	s_cmp_eq_u32 s6, 0
	s_cbranch_scc1 .LBB2_105
; %bb.104:                              ;   in Loop: Header=BB2_106 Depth=2
	s_sleep 1
	s_cbranch_execnz .LBB2_106
	s_branch .LBB2_108
.LBB2_105:                              ;   in Loop: Header=BB2_30 Depth=1
	s_branch .LBB2_108
.LBB2_106:                              ;   Parent Loop BB2_30 Depth=1
                                        ; =>  This Inner Loop Header: Depth=2
	v_mov_b32_e32 v11, 1
	s_and_saveexec_b64 s[6:7], s[4:5]
	s_cbranch_execz .LBB2_103
; %bb.107:                              ;   in Loop: Header=BB2_106 Depth=2
	global_load_dword v11, v[36:37], off offset:20 glc
	s_waitcnt vmcnt(0)
	buffer_wbinvl1_vol
	v_and_b32_e32 v11, 1, v11
	s_branch .LBB2_103
.LBB2_108:                              ;   in Loop: Header=BB2_30 Depth=1
	global_load_dwordx2 v[9:10], v[9:10], off
	s_and_saveexec_b64 s[6:7], s[4:5]
	s_cbranch_execz .LBB2_29
; %bb.109:                              ;   in Loop: Header=BB2_30 Depth=1
	global_load_dwordx2 v[11:12], v35, s[10:11] offset:40
	global_load_dwordx2 v[23:24], v35, s[10:11] offset:24 glc
	global_load_dwordx2 v[15:16], v35, s[10:11]
	s_waitcnt vmcnt(2)
	v_readfirstlane_b32 s16, v11
	v_readfirstlane_b32 s17, v12
	s_add_u32 s18, s16, 1
	s_addc_u32 s19, s17, 0
	s_add_u32 s4, s18, s14
	s_addc_u32 s5, s19, s15
	s_cmp_eq_u64 s[4:5], 0
	s_cselect_b32 s5, s19, s5
	s_cselect_b32 s4, s18, s4
	s_and_b64 s[14:15], s[4:5], s[16:17]
	s_mul_i32 s15, s15, 24
	s_mul_hi_u32 s16, s14, 24
	s_mul_i32 s14, s14, 24
	s_add_i32 s15, s16, s15
	v_mov_b32_e32 v12, s15
	s_waitcnt vmcnt(0)
	v_add_co_u32_e32 v11, vcc, s14, v15
	v_addc_co_u32_e32 v12, vcc, v16, v12, vcc
	v_mov_b32_e32 v21, s4
	global_store_dwordx2 v[11:12], v[23:24], off
	v_mov_b32_e32 v22, s5
	s_waitcnt vmcnt(0)
	global_atomic_cmpswap_x2 v[21:22], v35, v[21:24], s[10:11] offset:24 glc
	s_waitcnt vmcnt(0)
	v_cmp_ne_u64_e32 vcc, v[21:22], v[23:24]
	s_and_b64 exec, exec, vcc
	s_cbranch_execz .LBB2_29
; %bb.110:                              ;   in Loop: Header=BB2_30 Depth=1
	s_mov_b64 s[14:15], 0
.LBB2_111:                              ;   Parent Loop BB2_30 Depth=1
                                        ; =>  This Inner Loop Header: Depth=2
	s_sleep 1
	global_store_dwordx2 v[11:12], v[21:22], off
	v_mov_b32_e32 v19, s4
	v_mov_b32_e32 v20, s5
	s_waitcnt vmcnt(0)
	global_atomic_cmpswap_x2 v[15:16], v35, v[19:22], s[10:11] offset:24 glc
	s_waitcnt vmcnt(0)
	v_cmp_eq_u64_e32 vcc, v[15:16], v[21:22]
	v_mov_b32_e32 v22, v16
	s_or_b64 s[14:15], vcc, s[14:15]
	v_mov_b32_e32 v21, v15
	s_andn2_b64 exec, exec, s[14:15]
	s_cbranch_execnz .LBB2_111
	s_branch .LBB2_29
.LBB2_112:
                                        ; implicit-def: $vgpr9_vgpr10
	s_cbranch_execnz .LBB2_114
	s_branch .LBB2_140
.LBB2_113:
	s_or_b64 exec, exec, s[12:13]
	s_branch .LBB2_140
.LBB2_114:
	v_readfirstlane_b32 s4, v38
	v_mov_b32_e32 v0, 0
	v_mov_b32_e32 v1, 0
	v_cmp_eq_u32_e64 s[4:5], s4, v38
	s_and_saveexec_b64 s[6:7], s[4:5]
	s_cbranch_execz .LBB2_120
; %bb.115:
	s_waitcnt vmcnt(0)
	v_mov_b32_e32 v9, 0
	global_load_dwordx2 v[17:18], v9, s[10:11] offset:24 glc
	s_waitcnt vmcnt(0)
	buffer_wbinvl1_vol
	global_load_dwordx2 v[0:1], v9, s[10:11] offset:40
	global_load_dwordx2 v[10:11], v9, s[10:11]
	s_waitcnt vmcnt(1)
	v_and_b32_e32 v0, v0, v17
	v_and_b32_e32 v1, v1, v18
	v_mul_lo_u32 v1, v1, 24
	v_mul_hi_u32 v12, v0, 24
	v_mul_lo_u32 v0, v0, 24
	v_add_u32_e32 v1, v12, v1
	s_waitcnt vmcnt(0)
	v_add_co_u32_e32 v0, vcc, v10, v0
	v_addc_co_u32_e32 v1, vcc, v11, v1, vcc
	global_load_dwordx2 v[15:16], v[0:1], off glc
	s_waitcnt vmcnt(0)
	global_atomic_cmpswap_x2 v[0:1], v9, v[15:18], s[10:11] offset:24 glc
	s_waitcnt vmcnt(0)
	buffer_wbinvl1_vol
	v_cmp_ne_u64_e32 vcc, v[0:1], v[17:18]
	s_and_saveexec_b64 s[12:13], vcc
	s_cbranch_execz .LBB2_119
; %bb.116:
	s_mov_b64 s[14:15], 0
.LBB2_117:                              ; =>This Inner Loop Header: Depth=1
	s_sleep 1
	global_load_dwordx2 v[10:11], v9, s[10:11] offset:40
	global_load_dwordx2 v[15:16], v9, s[10:11]
	v_mov_b32_e32 v18, v1
	v_mov_b32_e32 v17, v0
	s_waitcnt vmcnt(1)
	v_and_b32_e32 v0, v10, v17
	s_waitcnt vmcnt(0)
	v_mad_u64_u32 v[0:1], s[16:17], v0, 24, v[15:16]
	v_and_b32_e32 v10, v11, v18
	v_mad_u64_u32 v[10:11], s[16:17], v10, 24, v[1:2]
	v_mov_b32_e32 v1, v10
	global_load_dwordx2 v[15:16], v[0:1], off glc
	s_waitcnt vmcnt(0)
	global_atomic_cmpswap_x2 v[0:1], v9, v[15:18], s[10:11] offset:24 glc
	s_waitcnt vmcnt(0)
	buffer_wbinvl1_vol
	v_cmp_eq_u64_e32 vcc, v[0:1], v[17:18]
	s_or_b64 s[14:15], vcc, s[14:15]
	s_andn2_b64 exec, exec, s[14:15]
	s_cbranch_execnz .LBB2_117
; %bb.118:
	s_or_b64 exec, exec, s[14:15]
.LBB2_119:
	s_or_b64 exec, exec, s[12:13]
.LBB2_120:
	s_or_b64 exec, exec, s[6:7]
	v_mov_b32_e32 v15, 0
	global_load_dwordx2 v[16:17], v15, s[10:11] offset:40
	global_load_dwordx4 v[9:12], v15, s[10:11]
	v_readfirstlane_b32 s7, v1
	v_readfirstlane_b32 s6, v0
	s_mov_b64 s[12:13], exec
	s_waitcnt vmcnt(1)
	v_readfirstlane_b32 s14, v16
	v_readfirstlane_b32 s15, v17
	s_and_b64 s[14:15], s[14:15], s[6:7]
	s_mul_i32 s16, s15, 24
	s_mul_hi_u32 s17, s14, 24
	s_mul_i32 s18, s14, 24
	s_add_i32 s16, s17, s16
	v_mov_b32_e32 v1, s16
	s_waitcnt vmcnt(0)
	v_add_co_u32_e32 v0, vcc, s18, v9
	v_addc_co_u32_e32 v1, vcc, v10, v1, vcc
	s_and_saveexec_b64 s[16:17], s[4:5]
	s_cbranch_execz .LBB2_122
; %bb.121:
	v_mov_b32_e32 v17, s13
	v_mov_b32_e32 v16, s12
	;; [unrolled: 1-line block ×4, first 2 shown]
	global_store_dwordx4 v[0:1], v[16:19], off offset:8
.LBB2_122:
	s_or_b64 exec, exec, s[16:17]
	s_lshl_b64 s[12:13], s[14:15], 12
	v_mov_b32_e32 v16, s13
	v_add_co_u32_e32 v11, vcc, s12, v11
	v_addc_co_u32_e32 v12, vcc, v12, v16, vcc
	s_movk_i32 s12, 0xff1f
	v_and_or_b32 v13, v13, s12, 32
	v_add_co_u32_e32 v17, vcc, v11, v39
	s_mov_b32 s12, 0
	v_mov_b32_e32 v16, v15
	v_readfirstlane_b32 s16, v11
	v_readfirstlane_b32 s17, v12
	v_addc_co_u32_e32 v18, vcc, 0, v12, vcc
	s_mov_b32 s13, s12
	s_mov_b32 s14, s12
	;; [unrolled: 1-line block ×3, first 2 shown]
	s_nop 0
	global_store_dwordx4 v39, v[13:16], s[16:17]
	v_mov_b32_e32 v11, s12
	v_mov_b32_e32 v12, s13
	;; [unrolled: 1-line block ×4, first 2 shown]
	global_store_dwordx4 v39, v[11:14], s[16:17] offset:16
	global_store_dwordx4 v39, v[11:14], s[16:17] offset:32
	;; [unrolled: 1-line block ×3, first 2 shown]
	s_and_saveexec_b64 s[12:13], s[4:5]
	s_cbranch_execz .LBB2_130
; %bb.123:
	v_mov_b32_e32 v15, 0
	global_load_dwordx2 v[21:22], v15, s[10:11] offset:32 glc
	global_load_dwordx2 v[11:12], v15, s[10:11] offset:40
	v_mov_b32_e32 v19, s6
	v_mov_b32_e32 v20, s7
	s_waitcnt vmcnt(0)
	v_readfirstlane_b32 s14, v11
	v_readfirstlane_b32 s15, v12
	s_and_b64 s[14:15], s[14:15], s[6:7]
	s_mul_i32 s15, s15, 24
	s_mul_hi_u32 s16, s14, 24
	s_mul_i32 s14, s14, 24
	s_add_i32 s15, s16, s15
	v_mov_b32_e32 v11, s15
	v_add_co_u32_e32 v13, vcc, s14, v9
	v_addc_co_u32_e32 v14, vcc, v10, v11, vcc
	global_store_dwordx2 v[13:14], v[21:22], off
	s_waitcnt vmcnt(0)
	global_atomic_cmpswap_x2 v[11:12], v15, v[19:22], s[10:11] offset:32 glc
	s_waitcnt vmcnt(0)
	v_cmp_ne_u64_e32 vcc, v[11:12], v[21:22]
	s_and_saveexec_b64 s[14:15], vcc
	s_cbranch_execz .LBB2_126
; %bb.124:
	s_mov_b64 s[16:17], 0
.LBB2_125:                              ; =>This Inner Loop Header: Depth=1
	s_sleep 1
	global_store_dwordx2 v[13:14], v[11:12], off
	v_mov_b32_e32 v9, s6
	v_mov_b32_e32 v10, s7
	s_waitcnt vmcnt(0)
	global_atomic_cmpswap_x2 v[9:10], v15, v[9:12], s[10:11] offset:32 glc
	s_waitcnt vmcnt(0)
	v_cmp_eq_u64_e32 vcc, v[9:10], v[11:12]
	v_mov_b32_e32 v12, v10
	s_or_b64 s[16:17], vcc, s[16:17]
	v_mov_b32_e32 v11, v9
	s_andn2_b64 exec, exec, s[16:17]
	s_cbranch_execnz .LBB2_125
.LBB2_126:
	s_or_b64 exec, exec, s[14:15]
	v_mov_b32_e32 v12, 0
	global_load_dwordx2 v[9:10], v12, s[10:11] offset:16
	s_mov_b64 s[14:15], exec
	v_mbcnt_lo_u32_b32 v11, s14, 0
	v_mbcnt_hi_u32_b32 v11, s15, v11
	v_cmp_eq_u32_e32 vcc, 0, v11
	s_and_saveexec_b64 s[16:17], vcc
	s_cbranch_execz .LBB2_128
; %bb.127:
	s_bcnt1_i32_b64 s14, s[14:15]
	v_mov_b32_e32 v11, s14
	s_waitcnt vmcnt(0)
	global_atomic_add_x2 v[9:10], v[11:12], off offset:8
.LBB2_128:
	s_or_b64 exec, exec, s[16:17]
	s_waitcnt vmcnt(0)
	global_load_dwordx2 v[11:12], v[9:10], off offset:16
	s_waitcnt vmcnt(0)
	v_cmp_eq_u64_e32 vcc, 0, v[11:12]
	s_cbranch_vccnz .LBB2_130
; %bb.129:
	global_load_dword v9, v[9:10], off offset:24
	v_mov_b32_e32 v10, 0
	s_waitcnt vmcnt(0)
	v_readfirstlane_b32 s14, v9
	s_and_b32 m0, s14, 0xffffff
	global_store_dwordx2 v[11:12], v[9:10], off
	s_sendmsg sendmsg(MSG_INTERRUPT)
.LBB2_130:
	s_or_b64 exec, exec, s[12:13]
	s_branch .LBB2_134
.LBB2_131:                              ;   in Loop: Header=BB2_134 Depth=1
	s_or_b64 exec, exec, s[12:13]
	v_readfirstlane_b32 s12, v9
	s_cmp_eq_u32 s12, 0
	s_cbranch_scc1 .LBB2_133
; %bb.132:                              ;   in Loop: Header=BB2_134 Depth=1
	s_sleep 1
	s_cbranch_execnz .LBB2_134
	s_branch .LBB2_136
.LBB2_133:
	s_branch .LBB2_136
.LBB2_134:                              ; =>This Inner Loop Header: Depth=1
	v_mov_b32_e32 v9, 1
	s_and_saveexec_b64 s[12:13], s[4:5]
	s_cbranch_execz .LBB2_131
; %bb.135:                              ;   in Loop: Header=BB2_134 Depth=1
	global_load_dword v9, v[0:1], off offset:20 glc
	s_waitcnt vmcnt(0)
	buffer_wbinvl1_vol
	v_and_b32_e32 v9, 1, v9
	s_branch .LBB2_131
.LBB2_136:
	global_load_dwordx2 v[9:10], v[17:18], off
	s_and_saveexec_b64 s[12:13], s[4:5]
	s_cbranch_execz .LBB2_139
; %bb.137:
	v_mov_b32_e32 v15, 0
	global_load_dwordx2 v[0:1], v15, s[10:11] offset:40
	global_load_dwordx2 v[18:19], v15, s[10:11] offset:24 glc
	global_load_dwordx2 v[11:12], v15, s[10:11]
	s_waitcnt vmcnt(2)
	v_readfirstlane_b32 s14, v0
	v_readfirstlane_b32 s15, v1
	s_add_u32 s16, s14, 1
	s_addc_u32 s17, s15, 0
	s_add_u32 s4, s16, s6
	s_addc_u32 s5, s17, s7
	s_cmp_eq_u64 s[4:5], 0
	s_cselect_b32 s5, s17, s5
	s_cselect_b32 s4, s16, s4
	s_and_b64 s[6:7], s[4:5], s[14:15]
	s_mul_i32 s7, s7, 24
	s_mul_hi_u32 s14, s6, 24
	s_mul_i32 s6, s6, 24
	s_add_i32 s7, s14, s7
	v_mov_b32_e32 v1, s7
	s_waitcnt vmcnt(0)
	v_add_co_u32_e32 v0, vcc, s6, v11
	v_addc_co_u32_e32 v1, vcc, v12, v1, vcc
	v_mov_b32_e32 v16, s4
	global_store_dwordx2 v[0:1], v[18:19], off
	v_mov_b32_e32 v17, s5
	s_waitcnt vmcnt(0)
	global_atomic_cmpswap_x2 v[13:14], v15, v[16:19], s[10:11] offset:24 glc
	s_mov_b64 s[6:7], 0
	s_waitcnt vmcnt(0)
	v_cmp_ne_u64_e32 vcc, v[13:14], v[18:19]
	s_and_b64 exec, exec, vcc
	s_cbranch_execz .LBB2_139
.LBB2_138:                              ; =>This Inner Loop Header: Depth=1
	s_sleep 1
	global_store_dwordx2 v[0:1], v[13:14], off
	v_mov_b32_e32 v11, s4
	v_mov_b32_e32 v12, s5
	s_waitcnt vmcnt(0)
	global_atomic_cmpswap_x2 v[11:12], v15, v[11:14], s[10:11] offset:24 glc
	s_waitcnt vmcnt(0)
	v_cmp_eq_u64_e32 vcc, v[11:12], v[13:14]
	v_mov_b32_e32 v14, v12
	s_or_b64 s[6:7], vcc, s[6:7]
	v_mov_b32_e32 v13, v11
	s_andn2_b64 exec, exec, s[6:7]
	s_cbranch_execnz .LBB2_138
.LBB2_139:
	s_or_b64 exec, exec, s[12:13]
.LBB2_140:
	v_mov_b32_e32 v12, v3
	s_mov_b64 s[4:5], 0
	v_mov_b32_e32 v11, v2
.LBB2_141:                              ; =>This Inner Loop Header: Depth=1
	global_load_ubyte v13, v[11:12], off
	v_add_co_u32_e32 v0, vcc, 1, v11
	v_addc_co_u32_e32 v1, vcc, 0, v12, vcc
	v_mov_b32_e32 v12, v1
	v_mov_b32_e32 v11, v0
	s_waitcnt vmcnt(0)
	v_cmp_eq_u16_e32 vcc, 0, v13
	s_or_b64 s[4:5], vcc, s[4:5]
	s_andn2_b64 exec, exec, s[4:5]
	s_cbranch_execnz .LBB2_141
; %bb.142:
	s_or_b64 exec, exec, s[4:5]
	v_cmp_ne_u64_e32 vcc, 0, v[2:3]
	s_mov_b64 s[12:13], 0
	s_and_saveexec_b64 s[4:5], vcc
	s_xor_b64 s[6:7], exec, s[4:5]
	s_cbranch_execz .LBB2_228
; %bb.143:
	v_sub_u32_e32 v0, v0, v2
	v_ashrrev_i32_e32 v1, 31, v0
	v_and_b32_e32 v48, 2, v9
	v_mov_b32_e32 v33, 0
	v_and_b32_e32 v9, -3, v9
	s_mov_b32 s22, 0
	s_movk_i32 s23, 0x1e0
	v_mov_b32_e32 v15, 2
	v_mov_b32_e32 v16, 1
	s_branch .LBB2_145
.LBB2_144:                              ;   in Loop: Header=BB2_145 Depth=1
	s_or_b64 exec, exec, s[16:17]
	v_sub_co_u32_e32 v0, vcc, v0, v34
	v_subb_co_u32_e32 v1, vcc, v1, v35, vcc
	v_cmp_eq_u64_e32 vcc, 0, v[0:1]
	s_or_b64 s[12:13], vcc, s[12:13]
	v_add_co_u32_e32 v2, vcc, v2, v34
	v_addc_co_u32_e32 v3, vcc, v3, v35, vcc
	s_andn2_b64 exec, exec, s[12:13]
	s_cbranch_execz .LBB2_227
.LBB2_145:                              ; =>This Loop Header: Depth=1
                                        ;     Child Loop BB2_148 Depth 2
                                        ;     Child Loop BB2_156 Depth 2
                                        ;     Child Loop BB2_164 Depth 2
                                        ;     Child Loop BB2_172 Depth 2
                                        ;     Child Loop BB2_180 Depth 2
                                        ;     Child Loop BB2_188 Depth 2
                                        ;     Child Loop BB2_196 Depth 2
                                        ;     Child Loop BB2_204 Depth 2
                                        ;     Child Loop BB2_212 Depth 2
                                        ;     Child Loop BB2_221 Depth 2
                                        ;     Child Loop BB2_226 Depth 2
	v_cmp_gt_u64_e32 vcc, 56, v[0:1]
	v_add_co_u32_e64 v19, s[4:5], 8, v2
	v_cndmask_b32_e32 v35, 0, v1, vcc
	v_cndmask_b32_e32 v34, 56, v0, vcc
	v_cmp_gt_u64_e32 vcc, 8, v[0:1]
	v_addc_co_u32_e64 v20, s[4:5], 0, v3, s[4:5]
	s_and_saveexec_b64 s[4:5], vcc
	s_xor_b64 s[4:5], exec, s[4:5]
	s_cbranch_execz .LBB2_151
; %bb.146:                              ;   in Loop: Header=BB2_145 Depth=1
	v_mov_b32_e32 v11, 0
	v_cmp_ne_u64_e32 vcc, 0, v[0:1]
	v_mov_b32_e32 v12, 0
	s_and_saveexec_b64 s[14:15], vcc
	s_cbranch_execz .LBB2_150
; %bb.147:                              ;   in Loop: Header=BB2_145 Depth=1
	v_lshlrev_b64 v[13:14], 3, v[34:35]
	v_mov_b32_e32 v11, 0
	v_mov_b32_e32 v18, v3
	s_mov_b64 s[16:17], 0
	v_mov_b32_e32 v12, 0
	v_mov_b32_e32 v17, v2
	s_mov_b64 s[18:19], 0
.LBB2_148:                              ;   Parent Loop BB2_145 Depth=1
                                        ; =>  This Inner Loop Header: Depth=2
	global_load_ubyte v14, v[17:18], off
	v_mov_b32_e32 v20, s22
	v_add_co_u32_e32 v17, vcc, 1, v17
	v_addc_co_u32_e32 v18, vcc, 0, v18, vcc
	s_waitcnt vmcnt(0)
	v_and_b32_e32 v19, 0xffff, v14
	v_lshlrev_b64 v[19:20], s18, v[19:20]
	s_add_u32 s18, s18, 8
	s_addc_u32 s19, s19, 0
	v_cmp_eq_u32_e32 vcc, s18, v13
	v_or_b32_e32 v12, v20, v12
	s_or_b64 s[16:17], vcc, s[16:17]
	v_or_b32_e32 v11, v19, v11
	s_andn2_b64 exec, exec, s[16:17]
	s_cbranch_execnz .LBB2_148
; %bb.149:                              ;   in Loop: Header=BB2_145 Depth=1
	s_or_b64 exec, exec, s[16:17]
.LBB2_150:                              ;   in Loop: Header=BB2_145 Depth=1
	s_or_b64 exec, exec, s[14:15]
	v_mov_b32_e32 v20, v3
	v_mov_b32_e32 v19, v2
.LBB2_151:                              ;   in Loop: Header=BB2_145 Depth=1
	s_or_saveexec_b64 s[4:5], s[4:5]
	v_mov_b32_e32 v21, 0
	s_xor_b64 exec, exec, s[4:5]
	s_cbranch_execz .LBB2_153
; %bb.152:                              ;   in Loop: Header=BB2_145 Depth=1
	global_load_dwordx2 v[11:12], v[2:3], off
	v_add_u32_e32 v21, -8, v34
.LBB2_153:                              ;   in Loop: Header=BB2_145 Depth=1
	s_or_b64 exec, exec, s[4:5]
	v_add_co_u32_e64 v13, s[4:5], 8, v19
	v_cmp_gt_u32_e32 vcc, 8, v21
	v_addc_co_u32_e64 v14, s[4:5], 0, v20, s[4:5]
                                        ; implicit-def: $vgpr17_vgpr18
	s_and_saveexec_b64 s[4:5], vcc
	s_xor_b64 s[4:5], exec, s[4:5]
	s_cbranch_execz .LBB2_159
; %bb.154:                              ;   in Loop: Header=BB2_145 Depth=1
	v_mov_b32_e32 v17, 0
	v_mov_b32_e32 v18, 0
	v_cmp_ne_u32_e32 vcc, 0, v21
	s_and_saveexec_b64 s[14:15], vcc
	s_cbranch_execz .LBB2_158
; %bb.155:                              ;   in Loop: Header=BB2_145 Depth=1
	v_mov_b32_e32 v17, 0
	s_mov_b64 s[16:17], 0
	v_mov_b32_e32 v18, 0
	s_mov_b64 s[18:19], 0
	s_mov_b64 s[20:21], 0
.LBB2_156:                              ;   Parent Loop BB2_145 Depth=1
                                        ; =>  This Inner Loop Header: Depth=2
	v_mov_b32_e32 v14, s21
	v_add_co_u32_e32 v13, vcc, s20, v19
	v_addc_co_u32_e32 v14, vcc, v20, v14, vcc
	global_load_ubyte v13, v[13:14], off
	s_add_u32 s20, s20, 1
	v_mov_b32_e32 v14, s22
	s_addc_u32 s21, s21, 0
	v_cmp_eq_u32_e32 vcc, s20, v21
	s_waitcnt vmcnt(0)
	v_and_b32_e32 v13, 0xffff, v13
	v_lshlrev_b64 v[13:14], s18, v[13:14]
	s_add_u32 s18, s18, 8
	s_addc_u32 s19, s19, 0
	v_or_b32_e32 v18, v14, v18
	s_or_b64 s[16:17], vcc, s[16:17]
	v_or_b32_e32 v17, v13, v17
	s_andn2_b64 exec, exec, s[16:17]
	s_cbranch_execnz .LBB2_156
; %bb.157:                              ;   in Loop: Header=BB2_145 Depth=1
	s_or_b64 exec, exec, s[16:17]
.LBB2_158:                              ;   in Loop: Header=BB2_145 Depth=1
	s_or_b64 exec, exec, s[14:15]
	v_mov_b32_e32 v13, v19
	v_mov_b32_e32 v14, v20
                                        ; implicit-def: $vgpr21
.LBB2_159:                              ;   in Loop: Header=BB2_145 Depth=1
	s_or_saveexec_b64 s[4:5], s[4:5]
	v_mov_b32_e32 v22, 0
	s_xor_b64 exec, exec, s[4:5]
	s_cbranch_execz .LBB2_161
; %bb.160:                              ;   in Loop: Header=BB2_145 Depth=1
	global_load_dwordx2 v[17:18], v[19:20], off
	v_add_u32_e32 v22, -8, v21
.LBB2_161:                              ;   in Loop: Header=BB2_145 Depth=1
	s_or_b64 exec, exec, s[4:5]
	v_add_co_u32_e64 v23, s[4:5], 8, v13
	v_cmp_gt_u32_e32 vcc, 8, v22
	v_addc_co_u32_e64 v24, s[4:5], 0, v14, s[4:5]
	s_and_saveexec_b64 s[4:5], vcc
	s_xor_b64 s[4:5], exec, s[4:5]
	s_cbranch_execz .LBB2_167
; %bb.162:                              ;   in Loop: Header=BB2_145 Depth=1
	v_mov_b32_e32 v19, 0
	v_mov_b32_e32 v20, 0
	v_cmp_ne_u32_e32 vcc, 0, v22
	s_and_saveexec_b64 s[14:15], vcc
	s_cbranch_execz .LBB2_166
; %bb.163:                              ;   in Loop: Header=BB2_145 Depth=1
	v_mov_b32_e32 v19, 0
	s_mov_b64 s[16:17], 0
	v_mov_b32_e32 v20, 0
	s_mov_b64 s[18:19], 0
	s_mov_b64 s[20:21], 0
.LBB2_164:                              ;   Parent Loop BB2_145 Depth=1
                                        ; =>  This Inner Loop Header: Depth=2
	v_mov_b32_e32 v21, s21
	v_add_co_u32_e32 v23, vcc, s20, v13
	v_addc_co_u32_e32 v24, vcc, v14, v21, vcc
	global_load_ubyte v21, v[23:24], off
	s_add_u32 s20, s20, 1
	v_mov_b32_e32 v24, s22
	s_addc_u32 s21, s21, 0
	v_cmp_eq_u32_e32 vcc, s20, v22
	s_waitcnt vmcnt(0)
	v_and_b32_e32 v23, 0xffff, v21
	v_lshlrev_b64 v[23:24], s18, v[23:24]
	s_add_u32 s18, s18, 8
	s_addc_u32 s19, s19, 0
	v_or_b32_e32 v20, v24, v20
	s_or_b64 s[16:17], vcc, s[16:17]
	v_or_b32_e32 v19, v23, v19
	s_andn2_b64 exec, exec, s[16:17]
	s_cbranch_execnz .LBB2_164
; %bb.165:                              ;   in Loop: Header=BB2_145 Depth=1
	s_or_b64 exec, exec, s[16:17]
.LBB2_166:                              ;   in Loop: Header=BB2_145 Depth=1
	s_or_b64 exec, exec, s[14:15]
	v_mov_b32_e32 v24, v14
	v_mov_b32_e32 v23, v13
                                        ; implicit-def: $vgpr22
.LBB2_167:                              ;   in Loop: Header=BB2_145 Depth=1
	s_or_saveexec_b64 s[4:5], s[4:5]
	v_mov_b32_e32 v25, 0
	s_xor_b64 exec, exec, s[4:5]
	s_cbranch_execz .LBB2_169
; %bb.168:                              ;   in Loop: Header=BB2_145 Depth=1
	global_load_dwordx2 v[19:20], v[13:14], off
	v_add_u32_e32 v25, -8, v22
.LBB2_169:                              ;   in Loop: Header=BB2_145 Depth=1
	s_or_b64 exec, exec, s[4:5]
	v_add_co_u32_e64 v13, s[4:5], 8, v23
	v_cmp_gt_u32_e32 vcc, 8, v25
	v_addc_co_u32_e64 v14, s[4:5], 0, v24, s[4:5]
                                        ; implicit-def: $vgpr21_vgpr22
	s_and_saveexec_b64 s[4:5], vcc
	s_xor_b64 s[4:5], exec, s[4:5]
	s_cbranch_execz .LBB2_175
; %bb.170:                              ;   in Loop: Header=BB2_145 Depth=1
	v_mov_b32_e32 v21, 0
	v_mov_b32_e32 v22, 0
	v_cmp_ne_u32_e32 vcc, 0, v25
	s_and_saveexec_b64 s[14:15], vcc
	s_cbranch_execz .LBB2_174
; %bb.171:                              ;   in Loop: Header=BB2_145 Depth=1
	v_mov_b32_e32 v21, 0
	s_mov_b64 s[16:17], 0
	v_mov_b32_e32 v22, 0
	s_mov_b64 s[18:19], 0
	s_mov_b64 s[20:21], 0
.LBB2_172:                              ;   Parent Loop BB2_145 Depth=1
                                        ; =>  This Inner Loop Header: Depth=2
	v_mov_b32_e32 v14, s21
	v_add_co_u32_e32 v13, vcc, s20, v23
	v_addc_co_u32_e32 v14, vcc, v24, v14, vcc
	global_load_ubyte v13, v[13:14], off
	s_add_u32 s20, s20, 1
	v_mov_b32_e32 v14, s22
	s_addc_u32 s21, s21, 0
	v_cmp_eq_u32_e32 vcc, s20, v25
	s_waitcnt vmcnt(0)
	v_and_b32_e32 v13, 0xffff, v13
	v_lshlrev_b64 v[13:14], s18, v[13:14]
	s_add_u32 s18, s18, 8
	s_addc_u32 s19, s19, 0
	v_or_b32_e32 v22, v14, v22
	s_or_b64 s[16:17], vcc, s[16:17]
	v_or_b32_e32 v21, v13, v21
	s_andn2_b64 exec, exec, s[16:17]
	s_cbranch_execnz .LBB2_172
; %bb.173:                              ;   in Loop: Header=BB2_145 Depth=1
	s_or_b64 exec, exec, s[16:17]
.LBB2_174:                              ;   in Loop: Header=BB2_145 Depth=1
	s_or_b64 exec, exec, s[14:15]
	v_mov_b32_e32 v13, v23
	v_mov_b32_e32 v14, v24
                                        ; implicit-def: $vgpr25
.LBB2_175:                              ;   in Loop: Header=BB2_145 Depth=1
	s_or_saveexec_b64 s[4:5], s[4:5]
	v_mov_b32_e32 v26, 0
	s_xor_b64 exec, exec, s[4:5]
	s_cbranch_execz .LBB2_177
; %bb.176:                              ;   in Loop: Header=BB2_145 Depth=1
	global_load_dwordx2 v[21:22], v[23:24], off
	v_add_u32_e32 v26, -8, v25
.LBB2_177:                              ;   in Loop: Header=BB2_145 Depth=1
	s_or_b64 exec, exec, s[4:5]
	v_add_co_u32_e64 v27, s[4:5], 8, v13
	v_cmp_gt_u32_e32 vcc, 8, v26
	v_addc_co_u32_e64 v28, s[4:5], 0, v14, s[4:5]
	s_and_saveexec_b64 s[4:5], vcc
	s_xor_b64 s[4:5], exec, s[4:5]
	s_cbranch_execz .LBB2_183
; %bb.178:                              ;   in Loop: Header=BB2_145 Depth=1
	v_mov_b32_e32 v23, 0
	v_mov_b32_e32 v24, 0
	v_cmp_ne_u32_e32 vcc, 0, v26
	s_and_saveexec_b64 s[14:15], vcc
	s_cbranch_execz .LBB2_182
; %bb.179:                              ;   in Loop: Header=BB2_145 Depth=1
	v_mov_b32_e32 v23, 0
	s_mov_b64 s[16:17], 0
	v_mov_b32_e32 v24, 0
	s_mov_b64 s[18:19], 0
	s_mov_b64 s[20:21], 0
.LBB2_180:                              ;   Parent Loop BB2_145 Depth=1
                                        ; =>  This Inner Loop Header: Depth=2
	v_mov_b32_e32 v25, s21
	v_add_co_u32_e32 v27, vcc, s20, v13
	v_addc_co_u32_e32 v28, vcc, v14, v25, vcc
	global_load_ubyte v25, v[27:28], off
	s_add_u32 s20, s20, 1
	v_mov_b32_e32 v28, s22
	s_addc_u32 s21, s21, 0
	v_cmp_eq_u32_e32 vcc, s20, v26
	s_waitcnt vmcnt(0)
	v_and_b32_e32 v27, 0xffff, v25
	v_lshlrev_b64 v[27:28], s18, v[27:28]
	s_add_u32 s18, s18, 8
	s_addc_u32 s19, s19, 0
	v_or_b32_e32 v24, v28, v24
	s_or_b64 s[16:17], vcc, s[16:17]
	v_or_b32_e32 v23, v27, v23
	s_andn2_b64 exec, exec, s[16:17]
	s_cbranch_execnz .LBB2_180
; %bb.181:                              ;   in Loop: Header=BB2_145 Depth=1
	s_or_b64 exec, exec, s[16:17]
.LBB2_182:                              ;   in Loop: Header=BB2_145 Depth=1
	s_or_b64 exec, exec, s[14:15]
	v_mov_b32_e32 v28, v14
	v_mov_b32_e32 v27, v13
                                        ; implicit-def: $vgpr26
.LBB2_183:                              ;   in Loop: Header=BB2_145 Depth=1
	s_or_saveexec_b64 s[4:5], s[4:5]
	v_mov_b32_e32 v29, 0
	s_xor_b64 exec, exec, s[4:5]
	s_cbranch_execz .LBB2_185
; %bb.184:                              ;   in Loop: Header=BB2_145 Depth=1
	global_load_dwordx2 v[23:24], v[13:14], off
	v_add_u32_e32 v29, -8, v26
.LBB2_185:                              ;   in Loop: Header=BB2_145 Depth=1
	s_or_b64 exec, exec, s[4:5]
	v_add_co_u32_e64 v13, s[4:5], 8, v27
	v_cmp_gt_u32_e32 vcc, 8, v29
	v_addc_co_u32_e64 v14, s[4:5], 0, v28, s[4:5]
                                        ; implicit-def: $vgpr25_vgpr26
	s_and_saveexec_b64 s[4:5], vcc
	s_xor_b64 s[4:5], exec, s[4:5]
	s_cbranch_execz .LBB2_191
; %bb.186:                              ;   in Loop: Header=BB2_145 Depth=1
	v_mov_b32_e32 v25, 0
	v_mov_b32_e32 v26, 0
	v_cmp_ne_u32_e32 vcc, 0, v29
	s_and_saveexec_b64 s[14:15], vcc
	s_cbranch_execz .LBB2_190
; %bb.187:                              ;   in Loop: Header=BB2_145 Depth=1
	v_mov_b32_e32 v25, 0
	s_mov_b64 s[16:17], 0
	v_mov_b32_e32 v26, 0
	s_mov_b64 s[18:19], 0
	s_mov_b64 s[20:21], 0
.LBB2_188:                              ;   Parent Loop BB2_145 Depth=1
                                        ; =>  This Inner Loop Header: Depth=2
	v_mov_b32_e32 v14, s21
	v_add_co_u32_e32 v13, vcc, s20, v27
	v_addc_co_u32_e32 v14, vcc, v28, v14, vcc
	global_load_ubyte v13, v[13:14], off
	s_add_u32 s20, s20, 1
	v_mov_b32_e32 v14, s22
	s_addc_u32 s21, s21, 0
	v_cmp_eq_u32_e32 vcc, s20, v29
	s_waitcnt vmcnt(0)
	v_and_b32_e32 v13, 0xffff, v13
	v_lshlrev_b64 v[13:14], s18, v[13:14]
	s_add_u32 s18, s18, 8
	s_addc_u32 s19, s19, 0
	v_or_b32_e32 v26, v14, v26
	s_or_b64 s[16:17], vcc, s[16:17]
	v_or_b32_e32 v25, v13, v25
	s_andn2_b64 exec, exec, s[16:17]
	s_cbranch_execnz .LBB2_188
; %bb.189:                              ;   in Loop: Header=BB2_145 Depth=1
	s_or_b64 exec, exec, s[16:17]
.LBB2_190:                              ;   in Loop: Header=BB2_145 Depth=1
	s_or_b64 exec, exec, s[14:15]
	v_mov_b32_e32 v13, v27
	v_mov_b32_e32 v14, v28
                                        ; implicit-def: $vgpr29
.LBB2_191:                              ;   in Loop: Header=BB2_145 Depth=1
	s_or_saveexec_b64 s[4:5], s[4:5]
	v_mov_b32_e32 v30, 0
	s_xor_b64 exec, exec, s[4:5]
	s_cbranch_execz .LBB2_193
; %bb.192:                              ;   in Loop: Header=BB2_145 Depth=1
	global_load_dwordx2 v[25:26], v[27:28], off
	v_add_u32_e32 v30, -8, v29
.LBB2_193:                              ;   in Loop: Header=BB2_145 Depth=1
	s_or_b64 exec, exec, s[4:5]
	v_cmp_gt_u32_e32 vcc, 8, v30
	s_and_saveexec_b64 s[4:5], vcc
	s_xor_b64 s[4:5], exec, s[4:5]
	s_cbranch_execz .LBB2_199
; %bb.194:                              ;   in Loop: Header=BB2_145 Depth=1
	v_mov_b32_e32 v27, 0
	v_mov_b32_e32 v28, 0
	v_cmp_ne_u32_e32 vcc, 0, v30
	s_and_saveexec_b64 s[14:15], vcc
	s_cbranch_execz .LBB2_198
; %bb.195:                              ;   in Loop: Header=BB2_145 Depth=1
	v_mov_b32_e32 v27, 0
	s_mov_b64 s[16:17], 0
	v_mov_b32_e32 v28, 0
	s_mov_b64 s[18:19], 0
.LBB2_196:                              ;   Parent Loop BB2_145 Depth=1
                                        ; =>  This Inner Loop Header: Depth=2
	global_load_ubyte v29, v[13:14], off
	v_mov_b32_e32 v32, s22
	v_add_co_u32_e32 v13, vcc, 1, v13
	v_add_u32_e32 v30, -1, v30
	v_addc_co_u32_e32 v14, vcc, 0, v14, vcc
	v_cmp_eq_u32_e32 vcc, 0, v30
	s_waitcnt vmcnt(0)
	v_and_b32_e32 v31, 0xffff, v29
	v_lshlrev_b64 v[31:32], s18, v[31:32]
	s_add_u32 s18, s18, 8
	s_addc_u32 s19, s19, 0
	v_or_b32_e32 v28, v32, v28
	s_or_b64 s[16:17], vcc, s[16:17]
	v_or_b32_e32 v27, v31, v27
	s_andn2_b64 exec, exec, s[16:17]
	s_cbranch_execnz .LBB2_196
; %bb.197:                              ;   in Loop: Header=BB2_145 Depth=1
	s_or_b64 exec, exec, s[16:17]
.LBB2_198:                              ;   in Loop: Header=BB2_145 Depth=1
	s_or_b64 exec, exec, s[14:15]
                                        ; implicit-def: $vgpr13_vgpr14
.LBB2_199:                              ;   in Loop: Header=BB2_145 Depth=1
	s_andn2_saveexec_b64 s[4:5], s[4:5]
	s_cbranch_execz .LBB2_201
; %bb.200:                              ;   in Loop: Header=BB2_145 Depth=1
	global_load_dwordx2 v[27:28], v[13:14], off
.LBB2_201:                              ;   in Loop: Header=BB2_145 Depth=1
	s_or_b64 exec, exec, s[4:5]
	v_readfirstlane_b32 s4, v38
	v_mov_b32_e32 v13, 0
	v_mov_b32_e32 v14, 0
	v_cmp_eq_u32_e64 s[4:5], s4, v38
	s_and_saveexec_b64 s[14:15], s[4:5]
	s_cbranch_execz .LBB2_207
; %bb.202:                              ;   in Loop: Header=BB2_145 Depth=1
	global_load_dwordx2 v[31:32], v33, s[10:11] offset:24 glc
	s_waitcnt vmcnt(0)
	buffer_wbinvl1_vol
	global_load_dwordx2 v[13:14], v33, s[10:11] offset:40
	global_load_dwordx2 v[29:30], v33, s[10:11]
	s_waitcnt vmcnt(1)
	v_and_b32_e32 v13, v13, v31
	v_and_b32_e32 v14, v14, v32
	v_mul_lo_u32 v14, v14, 24
	v_mul_hi_u32 v36, v13, 24
	v_mul_lo_u32 v13, v13, 24
	v_add_u32_e32 v14, v36, v14
	s_waitcnt vmcnt(0)
	v_add_co_u32_e32 v13, vcc, v29, v13
	v_addc_co_u32_e32 v14, vcc, v30, v14, vcc
	global_load_dwordx2 v[29:30], v[13:14], off glc
	s_waitcnt vmcnt(0)
	global_atomic_cmpswap_x2 v[13:14], v33, v[29:32], s[10:11] offset:24 glc
	s_waitcnt vmcnt(0)
	buffer_wbinvl1_vol
	v_cmp_ne_u64_e32 vcc, v[13:14], v[31:32]
	s_and_saveexec_b64 s[16:17], vcc
	s_cbranch_execz .LBB2_206
; %bb.203:                              ;   in Loop: Header=BB2_145 Depth=1
	s_mov_b64 s[18:19], 0
.LBB2_204:                              ;   Parent Loop BB2_145 Depth=1
                                        ; =>  This Inner Loop Header: Depth=2
	s_sleep 1
	global_load_dwordx2 v[29:30], v33, s[10:11] offset:40
	global_load_dwordx2 v[36:37], v33, s[10:11]
	v_mov_b32_e32 v32, v14
	v_mov_b32_e32 v31, v13
	s_waitcnt vmcnt(1)
	v_and_b32_e32 v13, v29, v31
	s_waitcnt vmcnt(0)
	v_mad_u64_u32 v[13:14], s[20:21], v13, 24, v[36:37]
	v_and_b32_e32 v29, v30, v32
	v_mad_u64_u32 v[29:30], s[20:21], v29, 24, v[14:15]
	v_mov_b32_e32 v14, v29
	global_load_dwordx2 v[29:30], v[13:14], off glc
	s_waitcnt vmcnt(0)
	global_atomic_cmpswap_x2 v[13:14], v33, v[29:32], s[10:11] offset:24 glc
	s_waitcnt vmcnt(0)
	buffer_wbinvl1_vol
	v_cmp_eq_u64_e32 vcc, v[13:14], v[31:32]
	s_or_b64 s[18:19], vcc, s[18:19]
	s_andn2_b64 exec, exec, s[18:19]
	s_cbranch_execnz .LBB2_204
; %bb.205:                              ;   in Loop: Header=BB2_145 Depth=1
	s_or_b64 exec, exec, s[18:19]
.LBB2_206:                              ;   in Loop: Header=BB2_145 Depth=1
	s_or_b64 exec, exec, s[16:17]
.LBB2_207:                              ;   in Loop: Header=BB2_145 Depth=1
	s_or_b64 exec, exec, s[14:15]
	global_load_dwordx2 v[36:37], v33, s[10:11] offset:40
	global_load_dwordx4 v[29:32], v33, s[10:11]
	v_readfirstlane_b32 s15, v14
	v_readfirstlane_b32 s14, v13
	s_mov_b64 s[16:17], exec
	s_waitcnt vmcnt(1)
	v_readfirstlane_b32 s18, v36
	v_readfirstlane_b32 s19, v37
	s_and_b64 s[18:19], s[18:19], s[14:15]
	s_mul_i32 s20, s19, 24
	s_mul_hi_u32 s21, s18, 24
	s_mul_i32 s24, s18, 24
	s_add_i32 s20, s21, s20
	v_mov_b32_e32 v13, s20
	s_waitcnt vmcnt(0)
	v_add_co_u32_e32 v36, vcc, s24, v29
	v_addc_co_u32_e32 v37, vcc, v30, v13, vcc
	s_and_saveexec_b64 s[20:21], s[4:5]
	s_cbranch_execz .LBB2_209
; %bb.208:                              ;   in Loop: Header=BB2_145 Depth=1
	v_mov_b32_e32 v13, s16
	v_mov_b32_e32 v14, s17
	global_store_dwordx4 v[36:37], v[13:16], off offset:8
.LBB2_209:                              ;   in Loop: Header=BB2_145 Depth=1
	s_or_b64 exec, exec, s[20:21]
	s_lshl_b64 s[16:17], s[18:19], 12
	v_mov_b32_e32 v13, s17
	v_add_co_u32_e32 v31, vcc, s16, v31
	v_addc_co_u32_e32 v49, vcc, v32, v13, vcc
	v_cmp_gt_u64_e32 vcc, 57, v[0:1]
	v_and_b32_e32 v9, 0xffffff1f, v9
	v_cndmask_b32_e32 v13, 0, v48, vcc
	v_lshl_add_u32 v14, v34, 2, 28
	v_or_b32_e32 v9, v9, v13
	v_and_or_b32 v9, v14, s23, v9
	v_readfirstlane_b32 s16, v31
	v_readfirstlane_b32 s17, v49
	s_nop 4
	global_store_dwordx4 v39, v[9:12], s[16:17]
	global_store_dwordx4 v39, v[17:20], s[16:17] offset:16
	global_store_dwordx4 v39, v[21:24], s[16:17] offset:32
	;; [unrolled: 1-line block ×3, first 2 shown]
	s_and_saveexec_b64 s[16:17], s[4:5]
	s_cbranch_execz .LBB2_217
; %bb.210:                              ;   in Loop: Header=BB2_145 Depth=1
	global_load_dwordx2 v[19:20], v33, s[10:11] offset:32 glc
	global_load_dwordx2 v[9:10], v33, s[10:11] offset:40
	v_mov_b32_e32 v17, s14
	v_mov_b32_e32 v18, s15
	s_waitcnt vmcnt(0)
	v_readfirstlane_b32 s18, v9
	v_readfirstlane_b32 s19, v10
	s_and_b64 s[18:19], s[18:19], s[14:15]
	s_mul_i32 s19, s19, 24
	s_mul_hi_u32 s20, s18, 24
	s_mul_i32 s18, s18, 24
	s_add_i32 s19, s20, s19
	v_mov_b32_e32 v9, s19
	v_add_co_u32_e32 v13, vcc, s18, v29
	v_addc_co_u32_e32 v14, vcc, v30, v9, vcc
	global_store_dwordx2 v[13:14], v[19:20], off
	s_waitcnt vmcnt(0)
	global_atomic_cmpswap_x2 v[11:12], v33, v[17:20], s[10:11] offset:32 glc
	s_waitcnt vmcnt(0)
	v_cmp_ne_u64_e32 vcc, v[11:12], v[19:20]
	s_and_saveexec_b64 s[18:19], vcc
	s_cbranch_execz .LBB2_213
; %bb.211:                              ;   in Loop: Header=BB2_145 Depth=1
	s_mov_b64 s[20:21], 0
.LBB2_212:                              ;   Parent Loop BB2_145 Depth=1
                                        ; =>  This Inner Loop Header: Depth=2
	s_sleep 1
	global_store_dwordx2 v[13:14], v[11:12], off
	v_mov_b32_e32 v9, s14
	v_mov_b32_e32 v10, s15
	s_waitcnt vmcnt(0)
	global_atomic_cmpswap_x2 v[9:10], v33, v[9:12], s[10:11] offset:32 glc
	s_waitcnt vmcnt(0)
	v_cmp_eq_u64_e32 vcc, v[9:10], v[11:12]
	v_mov_b32_e32 v12, v10
	s_or_b64 s[20:21], vcc, s[20:21]
	v_mov_b32_e32 v11, v9
	s_andn2_b64 exec, exec, s[20:21]
	s_cbranch_execnz .LBB2_212
.LBB2_213:                              ;   in Loop: Header=BB2_145 Depth=1
	s_or_b64 exec, exec, s[18:19]
	global_load_dwordx2 v[9:10], v33, s[10:11] offset:16
	s_mov_b64 s[20:21], exec
	v_mbcnt_lo_u32_b32 v11, s20, 0
	v_mbcnt_hi_u32_b32 v11, s21, v11
	v_cmp_eq_u32_e32 vcc, 0, v11
	s_and_saveexec_b64 s[18:19], vcc
	s_cbranch_execz .LBB2_215
; %bb.214:                              ;   in Loop: Header=BB2_145 Depth=1
	s_bcnt1_i32_b64 s20, s[20:21]
	v_mov_b32_e32 v32, s20
	s_waitcnt vmcnt(0)
	global_atomic_add_x2 v[9:10], v[32:33], off offset:8
.LBB2_215:                              ;   in Loop: Header=BB2_145 Depth=1
	s_or_b64 exec, exec, s[18:19]
	s_waitcnt vmcnt(0)
	global_load_dwordx2 v[11:12], v[9:10], off offset:16
	s_waitcnt vmcnt(0)
	v_cmp_eq_u64_e32 vcc, 0, v[11:12]
	s_cbranch_vccnz .LBB2_217
; %bb.216:                              ;   in Loop: Header=BB2_145 Depth=1
	global_load_dword v32, v[9:10], off offset:24
	s_waitcnt vmcnt(0)
	v_readfirstlane_b32 s18, v32
	s_and_b32 m0, s18, 0xffffff
	global_store_dwordx2 v[11:12], v[32:33], off
	s_sendmsg sendmsg(MSG_INTERRUPT)
.LBB2_217:                              ;   in Loop: Header=BB2_145 Depth=1
	s_or_b64 exec, exec, s[16:17]
	v_add_co_u32_e32 v9, vcc, v31, v39
	v_addc_co_u32_e32 v10, vcc, 0, v49, vcc
	s_branch .LBB2_221
.LBB2_218:                              ;   in Loop: Header=BB2_221 Depth=2
	s_or_b64 exec, exec, s[16:17]
	v_readfirstlane_b32 s16, v11
	s_cmp_eq_u32 s16, 0
	s_cbranch_scc1 .LBB2_220
; %bb.219:                              ;   in Loop: Header=BB2_221 Depth=2
	s_sleep 1
	s_cbranch_execnz .LBB2_221
	s_branch .LBB2_223
.LBB2_220:                              ;   in Loop: Header=BB2_145 Depth=1
	s_branch .LBB2_223
.LBB2_221:                              ;   Parent Loop BB2_145 Depth=1
                                        ; =>  This Inner Loop Header: Depth=2
	v_mov_b32_e32 v11, 1
	s_and_saveexec_b64 s[16:17], s[4:5]
	s_cbranch_execz .LBB2_218
; %bb.222:                              ;   in Loop: Header=BB2_221 Depth=2
	global_load_dword v11, v[36:37], off offset:20 glc
	s_waitcnt vmcnt(0)
	buffer_wbinvl1_vol
	v_and_b32_e32 v11, 1, v11
	s_branch .LBB2_218
.LBB2_223:                              ;   in Loop: Header=BB2_145 Depth=1
	global_load_dwordx2 v[9:10], v[9:10], off
	s_and_saveexec_b64 s[16:17], s[4:5]
	s_cbranch_execz .LBB2_144
; %bb.224:                              ;   in Loop: Header=BB2_145 Depth=1
	global_load_dwordx2 v[11:12], v33, s[10:11] offset:40
	global_load_dwordx2 v[21:22], v33, s[10:11] offset:24 glc
	global_load_dwordx2 v[13:14], v33, s[10:11]
	s_waitcnt vmcnt(2)
	v_readfirstlane_b32 s18, v11
	v_readfirstlane_b32 s19, v12
	s_add_u32 s20, s18, 1
	s_addc_u32 s21, s19, 0
	s_add_u32 s4, s20, s14
	s_addc_u32 s5, s21, s15
	s_cmp_eq_u64 s[4:5], 0
	s_cselect_b32 s5, s21, s5
	s_cselect_b32 s4, s20, s4
	s_and_b64 s[14:15], s[4:5], s[18:19]
	s_mul_i32 s15, s15, 24
	s_mul_hi_u32 s18, s14, 24
	s_mul_i32 s14, s14, 24
	s_add_i32 s15, s18, s15
	v_mov_b32_e32 v11, s15
	s_waitcnt vmcnt(0)
	v_add_co_u32_e32 v17, vcc, s14, v13
	v_addc_co_u32_e32 v18, vcc, v14, v11, vcc
	v_mov_b32_e32 v19, s4
	global_store_dwordx2 v[17:18], v[21:22], off
	v_mov_b32_e32 v20, s5
	s_waitcnt vmcnt(0)
	global_atomic_cmpswap_x2 v[13:14], v33, v[19:22], s[10:11] offset:24 glc
	s_waitcnt vmcnt(0)
	v_cmp_ne_u64_e32 vcc, v[13:14], v[21:22]
	s_and_b64 exec, exec, vcc
	s_cbranch_execz .LBB2_144
; %bb.225:                              ;   in Loop: Header=BB2_145 Depth=1
	s_mov_b64 s[14:15], 0
.LBB2_226:                              ;   Parent Loop BB2_145 Depth=1
                                        ; =>  This Inner Loop Header: Depth=2
	s_sleep 1
	global_store_dwordx2 v[17:18], v[13:14], off
	v_mov_b32_e32 v11, s4
	v_mov_b32_e32 v12, s5
	s_waitcnt vmcnt(0)
	global_atomic_cmpswap_x2 v[11:12], v33, v[11:14], s[10:11] offset:24 glc
	s_waitcnt vmcnt(0)
	v_cmp_eq_u64_e32 vcc, v[11:12], v[13:14]
	v_mov_b32_e32 v14, v12
	s_or_b64 s[14:15], vcc, s[14:15]
	v_mov_b32_e32 v13, v11
	s_andn2_b64 exec, exec, s[14:15]
	s_cbranch_execnz .LBB2_226
	s_branch .LBB2_144
.LBB2_227:
	s_or_b64 exec, exec, s[12:13]
.LBB2_228:
	s_andn2_saveexec_b64 s[6:7], s[6:7]
	s_cbranch_execz .LBB2_255
; %bb.229:
	v_readfirstlane_b32 s4, v38
	v_mov_b32_e32 v12, 0
	v_mov_b32_e32 v13, 0
	v_cmp_eq_u32_e64 s[4:5], s4, v38
	s_and_saveexec_b64 s[12:13], s[4:5]
	s_cbranch_execz .LBB2_235
; %bb.230:
	v_mov_b32_e32 v0, 0
	global_load_dwordx2 v[14:15], v0, s[10:11] offset:24 glc
	s_waitcnt vmcnt(0)
	buffer_wbinvl1_vol
	global_load_dwordx2 v[1:2], v0, s[10:11] offset:40
	global_load_dwordx2 v[11:12], v0, s[10:11]
	s_waitcnt vmcnt(1)
	v_and_b32_e32 v1, v1, v14
	v_and_b32_e32 v2, v2, v15
	v_mul_lo_u32 v2, v2, 24
	v_mul_hi_u32 v3, v1, 24
	v_mul_lo_u32 v1, v1, 24
	v_add_u32_e32 v2, v3, v2
	s_waitcnt vmcnt(0)
	v_add_co_u32_e32 v1, vcc, v11, v1
	v_addc_co_u32_e32 v2, vcc, v12, v2, vcc
	global_load_dwordx2 v[12:13], v[1:2], off glc
	s_waitcnt vmcnt(0)
	global_atomic_cmpswap_x2 v[12:13], v0, v[12:15], s[10:11] offset:24 glc
	s_waitcnt vmcnt(0)
	buffer_wbinvl1_vol
	v_cmp_ne_u64_e32 vcc, v[12:13], v[14:15]
	s_and_saveexec_b64 s[14:15], vcc
	s_cbranch_execz .LBB2_234
; %bb.231:
	s_mov_b64 s[16:17], 0
.LBB2_232:                              ; =>This Inner Loop Header: Depth=1
	s_sleep 1
	global_load_dwordx2 v[1:2], v0, s[10:11] offset:40
	global_load_dwordx2 v[16:17], v0, s[10:11]
	v_mov_b32_e32 v15, v13
	v_mov_b32_e32 v14, v12
	s_waitcnt vmcnt(1)
	v_and_b32_e32 v1, v1, v14
	s_waitcnt vmcnt(0)
	v_mad_u64_u32 v[11:12], s[18:19], v1, 24, v[16:17]
	v_and_b32_e32 v2, v2, v15
	v_mov_b32_e32 v1, v12
	v_mad_u64_u32 v[1:2], s[18:19], v2, 24, v[1:2]
	v_mov_b32_e32 v12, v1
	global_load_dwordx2 v[12:13], v[11:12], off glc
	s_waitcnt vmcnt(0)
	global_atomic_cmpswap_x2 v[12:13], v0, v[12:15], s[10:11] offset:24 glc
	s_waitcnt vmcnt(0)
	buffer_wbinvl1_vol
	v_cmp_eq_u64_e32 vcc, v[12:13], v[14:15]
	s_or_b64 s[16:17], vcc, s[16:17]
	s_andn2_b64 exec, exec, s[16:17]
	s_cbranch_execnz .LBB2_232
; %bb.233:
	s_or_b64 exec, exec, s[16:17]
.LBB2_234:
	s_or_b64 exec, exec, s[14:15]
.LBB2_235:
	s_or_b64 exec, exec, s[12:13]
	v_mov_b32_e32 v11, 0
	global_load_dwordx2 v[14:15], v11, s[10:11] offset:40
	global_load_dwordx4 v[0:3], v11, s[10:11]
	v_readfirstlane_b32 s13, v13
	v_readfirstlane_b32 s12, v12
	s_mov_b64 s[14:15], exec
	s_waitcnt vmcnt(1)
	v_readfirstlane_b32 s16, v14
	v_readfirstlane_b32 s17, v15
	s_and_b64 s[16:17], s[16:17], s[12:13]
	s_mul_i32 s18, s17, 24
	s_mul_hi_u32 s19, s16, 24
	s_mul_i32 s20, s16, 24
	s_add_i32 s18, s19, s18
	v_mov_b32_e32 v12, s18
	s_waitcnt vmcnt(0)
	v_add_co_u32_e32 v13, vcc, s20, v0
	v_addc_co_u32_e32 v14, vcc, v1, v12, vcc
	s_and_saveexec_b64 s[18:19], s[4:5]
	s_cbranch_execz .LBB2_237
; %bb.236:
	v_mov_b32_e32 v16, s15
	v_mov_b32_e32 v15, s14
	;; [unrolled: 1-line block ×4, first 2 shown]
	global_store_dwordx4 v[13:14], v[15:18], off offset:8
.LBB2_237:
	s_or_b64 exec, exec, s[18:19]
	s_lshl_b64 s[14:15], s[16:17], 12
	v_mov_b32_e32 v12, s15
	v_add_co_u32_e32 v2, vcc, s14, v2
	v_addc_co_u32_e32 v3, vcc, v3, v12, vcc
	s_movk_i32 s14, 0xff1f
	v_and_or_b32 v9, v9, s14, 32
	s_mov_b32 s16, 0
	v_mov_b32_e32 v12, v11
	v_readfirstlane_b32 s14, v2
	v_readfirstlane_b32 s15, v3
	v_add_co_u32_e32 v15, vcc, v2, v39
	s_mov_b32 s17, s16
	s_mov_b32 s18, s16
	;; [unrolled: 1-line block ×3, first 2 shown]
	s_nop 0
	global_store_dwordx4 v39, v[9:12], s[14:15]
	v_addc_co_u32_e32 v16, vcc, 0, v3, vcc
	v_mov_b32_e32 v9, s16
	v_mov_b32_e32 v10, s17
	;; [unrolled: 1-line block ×4, first 2 shown]
	global_store_dwordx4 v39, v[9:12], s[14:15] offset:16
	global_store_dwordx4 v39, v[9:12], s[14:15] offset:32
	;; [unrolled: 1-line block ×3, first 2 shown]
	s_and_saveexec_b64 s[14:15], s[4:5]
	s_cbranch_execz .LBB2_245
; %bb.238:
	v_mov_b32_e32 v11, 0
	global_load_dwordx2 v[19:20], v11, s[10:11] offset:32 glc
	global_load_dwordx2 v[2:3], v11, s[10:11] offset:40
	v_mov_b32_e32 v17, s12
	v_mov_b32_e32 v18, s13
	s_waitcnt vmcnt(0)
	v_readfirstlane_b32 s16, v2
	v_readfirstlane_b32 s17, v3
	s_and_b64 s[16:17], s[16:17], s[12:13]
	s_mul_i32 s17, s17, 24
	s_mul_hi_u32 s18, s16, 24
	s_mul_i32 s16, s16, 24
	s_add_i32 s17, s18, s17
	v_mov_b32_e32 v2, s17
	v_add_co_u32_e32 v9, vcc, s16, v0
	v_addc_co_u32_e32 v10, vcc, v1, v2, vcc
	global_store_dwordx2 v[9:10], v[19:20], off
	s_waitcnt vmcnt(0)
	global_atomic_cmpswap_x2 v[2:3], v11, v[17:20], s[10:11] offset:32 glc
	s_waitcnt vmcnt(0)
	v_cmp_ne_u64_e32 vcc, v[2:3], v[19:20]
	s_and_saveexec_b64 s[16:17], vcc
	s_cbranch_execz .LBB2_241
; %bb.239:
	s_mov_b64 s[18:19], 0
.LBB2_240:                              ; =>This Inner Loop Header: Depth=1
	s_sleep 1
	global_store_dwordx2 v[9:10], v[2:3], off
	v_mov_b32_e32 v0, s12
	v_mov_b32_e32 v1, s13
	s_waitcnt vmcnt(0)
	global_atomic_cmpswap_x2 v[0:1], v11, v[0:3], s[10:11] offset:32 glc
	s_waitcnt vmcnt(0)
	v_cmp_eq_u64_e32 vcc, v[0:1], v[2:3]
	v_mov_b32_e32 v3, v1
	s_or_b64 s[18:19], vcc, s[18:19]
	v_mov_b32_e32 v2, v0
	s_andn2_b64 exec, exec, s[18:19]
	s_cbranch_execnz .LBB2_240
.LBB2_241:
	s_or_b64 exec, exec, s[16:17]
	v_mov_b32_e32 v3, 0
	global_load_dwordx2 v[0:1], v3, s[10:11] offset:16
	s_mov_b64 s[16:17], exec
	v_mbcnt_lo_u32_b32 v2, s16, 0
	v_mbcnt_hi_u32_b32 v2, s17, v2
	v_cmp_eq_u32_e32 vcc, 0, v2
	s_and_saveexec_b64 s[18:19], vcc
	s_cbranch_execz .LBB2_243
; %bb.242:
	s_bcnt1_i32_b64 s16, s[16:17]
	v_mov_b32_e32 v2, s16
	s_waitcnt vmcnt(0)
	global_atomic_add_x2 v[0:1], v[2:3], off offset:8
.LBB2_243:
	s_or_b64 exec, exec, s[18:19]
	s_waitcnt vmcnt(0)
	global_load_dwordx2 v[2:3], v[0:1], off offset:16
	s_waitcnt vmcnt(0)
	v_cmp_eq_u64_e32 vcc, 0, v[2:3]
	s_cbranch_vccnz .LBB2_245
; %bb.244:
	global_load_dword v0, v[0:1], off offset:24
	v_mov_b32_e32 v1, 0
	s_waitcnt vmcnt(0)
	v_readfirstlane_b32 s16, v0
	s_and_b32 m0, s16, 0xffffff
	global_store_dwordx2 v[2:3], v[0:1], off
	s_sendmsg sendmsg(MSG_INTERRUPT)
.LBB2_245:
	s_or_b64 exec, exec, s[14:15]
	s_branch .LBB2_249
.LBB2_246:                              ;   in Loop: Header=BB2_249 Depth=1
	s_or_b64 exec, exec, s[14:15]
	v_readfirstlane_b32 s14, v0
	s_cmp_eq_u32 s14, 0
	s_cbranch_scc1 .LBB2_248
; %bb.247:                              ;   in Loop: Header=BB2_249 Depth=1
	s_sleep 1
	s_cbranch_execnz .LBB2_249
	s_branch .LBB2_251
.LBB2_248:
	s_branch .LBB2_251
.LBB2_249:                              ; =>This Inner Loop Header: Depth=1
	v_mov_b32_e32 v0, 1
	s_and_saveexec_b64 s[14:15], s[4:5]
	s_cbranch_execz .LBB2_246
; %bb.250:                              ;   in Loop: Header=BB2_249 Depth=1
	global_load_dword v0, v[13:14], off offset:20 glc
	s_waitcnt vmcnt(0)
	buffer_wbinvl1_vol
	v_and_b32_e32 v0, 1, v0
	s_branch .LBB2_246
.LBB2_251:
	global_load_dwordx2 v[9:10], v[15:16], off
	s_and_saveexec_b64 s[14:15], s[4:5]
	s_cbranch_execz .LBB2_254
; %bb.252:
	v_mov_b32_e32 v13, 0
	global_load_dwordx2 v[0:1], v13, s[10:11] offset:40
	global_load_dwordx2 v[16:17], v13, s[10:11] offset:24 glc
	global_load_dwordx2 v[2:3], v13, s[10:11]
	s_waitcnt vmcnt(2)
	v_readfirstlane_b32 s16, v0
	v_readfirstlane_b32 s17, v1
	s_add_u32 s18, s16, 1
	s_addc_u32 s19, s17, 0
	s_add_u32 s4, s18, s12
	s_addc_u32 s5, s19, s13
	s_cmp_eq_u64 s[4:5], 0
	s_cselect_b32 s5, s19, s5
	s_cselect_b32 s4, s18, s4
	s_and_b64 s[12:13], s[4:5], s[16:17]
	s_mul_i32 s13, s13, 24
	s_mul_hi_u32 s16, s12, 24
	s_mul_i32 s12, s12, 24
	s_add_i32 s13, s16, s13
	v_mov_b32_e32 v0, s13
	s_waitcnt vmcnt(0)
	v_add_co_u32_e32 v11, vcc, s12, v2
	v_addc_co_u32_e32 v12, vcc, v3, v0, vcc
	v_mov_b32_e32 v14, s4
	global_store_dwordx2 v[11:12], v[16:17], off
	v_mov_b32_e32 v15, s5
	s_waitcnt vmcnt(0)
	global_atomic_cmpswap_x2 v[2:3], v13, v[14:17], s[10:11] offset:24 glc
	s_mov_b64 s[12:13], 0
	s_waitcnt vmcnt(0)
	v_cmp_ne_u64_e32 vcc, v[2:3], v[16:17]
	s_and_b64 exec, exec, vcc
	s_cbranch_execz .LBB2_254
.LBB2_253:                              ; =>This Inner Loop Header: Depth=1
	s_sleep 1
	global_store_dwordx2 v[11:12], v[2:3], off
	v_mov_b32_e32 v0, s4
	v_mov_b32_e32 v1, s5
	s_waitcnt vmcnt(0)
	global_atomic_cmpswap_x2 v[0:1], v13, v[0:3], s[10:11] offset:24 glc
	s_waitcnt vmcnt(0)
	v_cmp_eq_u64_e32 vcc, v[0:1], v[2:3]
	v_mov_b32_e32 v3, v1
	s_or_b64 s[12:13], vcc, s[12:13]
	v_mov_b32_e32 v2, v0
	s_andn2_b64 exec, exec, s[12:13]
	s_cbranch_execnz .LBB2_253
.LBB2_254:
	s_or_b64 exec, exec, s[14:15]
.LBB2_255:
	s_or_b64 exec, exec, s[6:7]
	v_readfirstlane_b32 s4, v38
	v_mov_b32_e32 v13, 0
	v_mov_b32_e32 v14, 0
	v_cmp_eq_u32_e64 s[4:5], s4, v38
	s_and_saveexec_b64 s[6:7], s[4:5]
	s_cbranch_execz .LBB2_261
; %bb.256:
	v_mov_b32_e32 v0, 0
	global_load_dwordx2 v[15:16], v0, s[10:11] offset:24 glc
	s_waitcnt vmcnt(0)
	buffer_wbinvl1_vol
	global_load_dwordx2 v[1:2], v0, s[10:11] offset:40
	global_load_dwordx2 v[11:12], v0, s[10:11]
	s_waitcnt vmcnt(1)
	v_and_b32_e32 v1, v1, v15
	v_and_b32_e32 v2, v2, v16
	v_mul_lo_u32 v2, v2, 24
	v_mul_hi_u32 v3, v1, 24
	v_mul_lo_u32 v1, v1, 24
	v_add_u32_e32 v2, v3, v2
	s_waitcnt vmcnt(0)
	v_add_co_u32_e32 v1, vcc, v11, v1
	v_addc_co_u32_e32 v2, vcc, v12, v2, vcc
	global_load_dwordx2 v[13:14], v[1:2], off glc
	s_waitcnt vmcnt(0)
	global_atomic_cmpswap_x2 v[13:14], v0, v[13:16], s[10:11] offset:24 glc
	s_waitcnt vmcnt(0)
	buffer_wbinvl1_vol
	v_cmp_ne_u64_e32 vcc, v[13:14], v[15:16]
	s_and_saveexec_b64 s[12:13], vcc
	s_cbranch_execz .LBB2_260
; %bb.257:
	s_mov_b64 s[14:15], 0
.LBB2_258:                              ; =>This Inner Loop Header: Depth=1
	s_sleep 1
	global_load_dwordx2 v[1:2], v0, s[10:11] offset:40
	global_load_dwordx2 v[11:12], v0, s[10:11]
	v_mov_b32_e32 v16, v14
	v_mov_b32_e32 v15, v13
	s_waitcnt vmcnt(1)
	v_and_b32_e32 v1, v1, v15
	s_waitcnt vmcnt(0)
	v_mad_u64_u32 v[11:12], s[16:17], v1, 24, v[11:12]
	v_and_b32_e32 v2, v2, v16
	v_mov_b32_e32 v1, v12
	v_mad_u64_u32 v[1:2], s[16:17], v2, 24, v[1:2]
	v_mov_b32_e32 v12, v1
	global_load_dwordx2 v[13:14], v[11:12], off glc
	s_waitcnt vmcnt(0)
	global_atomic_cmpswap_x2 v[13:14], v0, v[13:16], s[10:11] offset:24 glc
	s_waitcnt vmcnt(0)
	buffer_wbinvl1_vol
	v_cmp_eq_u64_e32 vcc, v[13:14], v[15:16]
	s_or_b64 s[14:15], vcc, s[14:15]
	s_andn2_b64 exec, exec, s[14:15]
	s_cbranch_execnz .LBB2_258
; %bb.259:
	s_or_b64 exec, exec, s[14:15]
.LBB2_260:
	s_or_b64 exec, exec, s[12:13]
.LBB2_261:
	s_or_b64 exec, exec, s[6:7]
	v_mov_b32_e32 v12, 0
	global_load_dwordx2 v[15:16], v12, s[10:11] offset:40
	global_load_dwordx4 v[0:3], v12, s[10:11]
	v_readfirstlane_b32 s7, v14
	v_readfirstlane_b32 s6, v13
	s_mov_b64 s[12:13], exec
	s_waitcnt vmcnt(1)
	v_readfirstlane_b32 s14, v15
	v_readfirstlane_b32 s15, v16
	s_and_b64 s[14:15], s[14:15], s[6:7]
	s_mul_i32 s16, s15, 24
	s_mul_hi_u32 s17, s14, 24
	s_mul_i32 s18, s14, 24
	s_add_i32 s16, s17, s16
	v_mov_b32_e32 v11, s16
	s_waitcnt vmcnt(0)
	v_add_co_u32_e32 v13, vcc, s18, v0
	v_addc_co_u32_e32 v14, vcc, v1, v11, vcc
	s_and_saveexec_b64 s[16:17], s[4:5]
	s_cbranch_execz .LBB2_263
; %bb.262:
	v_mov_b32_e32 v16, s13
	v_mov_b32_e32 v15, s12
	;; [unrolled: 1-line block ×4, first 2 shown]
	global_store_dwordx4 v[13:14], v[15:18], off offset:8
.LBB2_263:
	s_or_b64 exec, exec, s[16:17]
	s_lshl_b64 s[12:13], s[14:15], 12
	v_mov_b32_e32 v11, s13
	v_add_co_u32_e32 v2, vcc, s12, v2
	v_addc_co_u32_e32 v3, vcc, v3, v11, vcc
	s_movk_i32 s12, 0xff1f
	v_and_or_b32 v9, v9, s12, 32
	v_mov_b32_e32 v11, v4
	v_readfirstlane_b32 s16, v2
	v_readfirstlane_b32 s17, v3
	s_mov_b32 s12, 0
	v_add_co_u32_e32 v15, vcc, v2, v39
	s_mov_b32 s13, s12
	s_mov_b32 s14, s12
	s_nop 0
	global_store_dwordx4 v39, v[9:12], s[16:17]
	s_mov_b32 s15, s12
	v_mov_b32_e32 v9, s12
	v_addc_co_u32_e32 v16, vcc, 0, v3, vcc
	v_mov_b32_e32 v10, s13
	v_mov_b32_e32 v11, s14
	;; [unrolled: 1-line block ×3, first 2 shown]
	global_store_dwordx4 v39, v[9:12], s[16:17] offset:16
	global_store_dwordx4 v39, v[9:12], s[16:17] offset:32
	global_store_dwordx4 v39, v[9:12], s[16:17] offset:48
	s_and_saveexec_b64 s[12:13], s[4:5]
	s_cbranch_execz .LBB2_271
; %bb.264:
	v_mov_b32_e32 v4, 0
	global_load_dwordx2 v[19:20], v4, s[10:11] offset:32 glc
	global_load_dwordx2 v[2:3], v4, s[10:11] offset:40
	v_mov_b32_e32 v17, s6
	v_mov_b32_e32 v18, s7
	s_waitcnt vmcnt(0)
	v_readfirstlane_b32 s14, v2
	v_readfirstlane_b32 s15, v3
	s_and_b64 s[14:15], s[14:15], s[6:7]
	s_mul_i32 s15, s15, 24
	s_mul_hi_u32 s16, s14, 24
	s_mul_i32 s14, s14, 24
	s_add_i32 s15, s16, s15
	v_mov_b32_e32 v2, s15
	v_add_co_u32_e32 v9, vcc, s14, v0
	v_addc_co_u32_e32 v10, vcc, v1, v2, vcc
	global_store_dwordx2 v[9:10], v[19:20], off
	s_waitcnt vmcnt(0)
	global_atomic_cmpswap_x2 v[2:3], v4, v[17:20], s[10:11] offset:32 glc
	s_waitcnt vmcnt(0)
	v_cmp_ne_u64_e32 vcc, v[2:3], v[19:20]
	s_and_saveexec_b64 s[14:15], vcc
	s_cbranch_execz .LBB2_267
; %bb.265:
	s_mov_b64 s[16:17], 0
.LBB2_266:                              ; =>This Inner Loop Header: Depth=1
	s_sleep 1
	global_store_dwordx2 v[9:10], v[2:3], off
	v_mov_b32_e32 v0, s6
	v_mov_b32_e32 v1, s7
	s_waitcnt vmcnt(0)
	global_atomic_cmpswap_x2 v[0:1], v4, v[0:3], s[10:11] offset:32 glc
	s_waitcnt vmcnt(0)
	v_cmp_eq_u64_e32 vcc, v[0:1], v[2:3]
	v_mov_b32_e32 v3, v1
	s_or_b64 s[16:17], vcc, s[16:17]
	v_mov_b32_e32 v2, v0
	s_andn2_b64 exec, exec, s[16:17]
	s_cbranch_execnz .LBB2_266
.LBB2_267:
	s_or_b64 exec, exec, s[14:15]
	v_mov_b32_e32 v3, 0
	global_load_dwordx2 v[0:1], v3, s[10:11] offset:16
	s_mov_b64 s[14:15], exec
	v_mbcnt_lo_u32_b32 v2, s14, 0
	v_mbcnt_hi_u32_b32 v2, s15, v2
	v_cmp_eq_u32_e32 vcc, 0, v2
	s_and_saveexec_b64 s[16:17], vcc
	s_cbranch_execz .LBB2_269
; %bb.268:
	s_bcnt1_i32_b64 s14, s[14:15]
	v_mov_b32_e32 v2, s14
	s_waitcnt vmcnt(0)
	global_atomic_add_x2 v[0:1], v[2:3], off offset:8
.LBB2_269:
	s_or_b64 exec, exec, s[16:17]
	s_waitcnt vmcnt(0)
	global_load_dwordx2 v[2:3], v[0:1], off offset:16
	s_waitcnt vmcnt(0)
	v_cmp_eq_u64_e32 vcc, 0, v[2:3]
	s_cbranch_vccnz .LBB2_271
; %bb.270:
	global_load_dword v0, v[0:1], off offset:24
	v_mov_b32_e32 v1, 0
	s_waitcnt vmcnt(0)
	v_readfirstlane_b32 s14, v0
	s_and_b32 m0, s14, 0xffffff
	global_store_dwordx2 v[2:3], v[0:1], off
	s_sendmsg sendmsg(MSG_INTERRUPT)
.LBB2_271:
	s_or_b64 exec, exec, s[12:13]
	s_branch .LBB2_275
.LBB2_272:                              ;   in Loop: Header=BB2_275 Depth=1
	s_or_b64 exec, exec, s[12:13]
	v_readfirstlane_b32 s12, v0
	s_cmp_eq_u32 s12, 0
	s_cbranch_scc1 .LBB2_274
; %bb.273:                              ;   in Loop: Header=BB2_275 Depth=1
	s_sleep 1
	s_cbranch_execnz .LBB2_275
	s_branch .LBB2_277
.LBB2_274:
	s_branch .LBB2_277
.LBB2_275:                              ; =>This Inner Loop Header: Depth=1
	v_mov_b32_e32 v0, 1
	s_and_saveexec_b64 s[12:13], s[4:5]
	s_cbranch_execz .LBB2_272
; %bb.276:                              ;   in Loop: Header=BB2_275 Depth=1
	global_load_dword v0, v[13:14], off offset:20 glc
	s_waitcnt vmcnt(0)
	buffer_wbinvl1_vol
	v_and_b32_e32 v0, 1, v0
	s_branch .LBB2_272
.LBB2_277:
	global_load_dwordx2 v[0:1], v[15:16], off
	s_and_saveexec_b64 s[12:13], s[4:5]
	s_cbranch_execz .LBB2_280
; %bb.278:
	v_mov_b32_e32 v4, 0
	global_load_dwordx2 v[2:3], v4, s[10:11] offset:40
	global_load_dwordx2 v[13:14], v4, s[10:11] offset:24 glc
	global_load_dwordx2 v[9:10], v4, s[10:11]
	s_waitcnt vmcnt(2)
	v_readfirstlane_b32 s14, v2
	v_readfirstlane_b32 s15, v3
	s_add_u32 s16, s14, 1
	s_addc_u32 s17, s15, 0
	s_add_u32 s4, s16, s6
	s_addc_u32 s5, s17, s7
	s_cmp_eq_u64 s[4:5], 0
	s_cselect_b32 s5, s17, s5
	s_cselect_b32 s4, s16, s4
	s_and_b64 s[6:7], s[4:5], s[14:15]
	s_mul_i32 s7, s7, 24
	s_mul_hi_u32 s14, s6, 24
	s_mul_i32 s6, s6, 24
	s_add_i32 s7, s14, s7
	v_mov_b32_e32 v3, s7
	s_waitcnt vmcnt(0)
	v_add_co_u32_e32 v2, vcc, s6, v9
	v_addc_co_u32_e32 v3, vcc, v10, v3, vcc
	v_mov_b32_e32 v11, s4
	global_store_dwordx2 v[2:3], v[13:14], off
	v_mov_b32_e32 v12, s5
	s_waitcnt vmcnt(0)
	global_atomic_cmpswap_x2 v[11:12], v4, v[11:14], s[10:11] offset:24 glc
	s_mov_b64 s[6:7], 0
	s_waitcnt vmcnt(0)
	v_cmp_ne_u64_e32 vcc, v[11:12], v[13:14]
	s_and_b64 exec, exec, vcc
	s_cbranch_execz .LBB2_280
.LBB2_279:                              ; =>This Inner Loop Header: Depth=1
	s_sleep 1
	global_store_dwordx2 v[2:3], v[11:12], off
	v_mov_b32_e32 v9, s4
	v_mov_b32_e32 v10, s5
	s_waitcnt vmcnt(0)
	global_atomic_cmpswap_x2 v[9:10], v4, v[9:12], s[10:11] offset:24 glc
	s_waitcnt vmcnt(0)
	v_cmp_eq_u64_e32 vcc, v[9:10], v[11:12]
	v_mov_b32_e32 v12, v10
	s_or_b64 s[6:7], vcc, s[6:7]
	v_mov_b32_e32 v11, v9
	s_andn2_b64 exec, exec, s[6:7]
	s_cbranch_execnz .LBB2_279
.LBB2_280:
	s_or_b64 exec, exec, s[12:13]
	v_mov_b32_e32 v3, v5
	s_mov_b64 s[4:5], 0
	v_mov_b32_e32 v4, v6
.LBB2_281:                              ; =>This Inner Loop Header: Depth=1
	global_load_ubyte v9, v[3:4], off
	v_add_co_u32_e32 v2, vcc, 1, v3
	v_addc_co_u32_e32 v3, vcc, 0, v4, vcc
	v_mov_b32_e32 v4, v3
	v_mov_b32_e32 v3, v2
	s_waitcnt vmcnt(0)
	v_cmp_eq_u16_e32 vcc, 0, v9
	s_or_b64 s[4:5], vcc, s[4:5]
	s_andn2_b64 exec, exec, s[4:5]
	s_cbranch_execnz .LBB2_281
; %bb.282:
	s_or_b64 exec, exec, s[4:5]
	v_cmp_ne_u64_e32 vcc, 0, v[5:6]
	s_mov_b64 s[12:13], 0
	s_and_saveexec_b64 s[4:5], vcc
	s_xor_b64 s[6:7], exec, s[4:5]
	s_cbranch_execz .LBB2_368
; %bb.283:
	v_sub_u32_e32 v29, v2, v5
	v_ashrrev_i32_e32 v30, 31, v29
	v_and_b32_e32 v35, 2, v0
	v_mov_b32_e32 v4, 0
	v_and_b32_e32 v0, -3, v0
	s_mov_b32 s22, 0
	s_movk_i32 s23, 0x1e0
	v_mov_b32_e32 v11, 2
	v_mov_b32_e32 v12, 1
	s_branch .LBB2_285
.LBB2_284:                              ;   in Loop: Header=BB2_285 Depth=1
	s_or_b64 exec, exec, s[16:17]
	v_sub_co_u32_e32 v29, vcc, v29, v31
	v_subb_co_u32_e32 v30, vcc, v30, v32, vcc
	v_cmp_eq_u64_e32 vcc, 0, v[29:30]
	s_or_b64 s[12:13], vcc, s[12:13]
	v_add_co_u32_e32 v5, vcc, v5, v31
	v_addc_co_u32_e32 v6, vcc, v6, v32, vcc
	s_andn2_b64 exec, exec, s[12:13]
	s_cbranch_execz .LBB2_367
.LBB2_285:                              ; =>This Loop Header: Depth=1
                                        ;     Child Loop BB2_288 Depth 2
                                        ;     Child Loop BB2_296 Depth 2
                                        ;     Child Loop BB2_304 Depth 2
                                        ;     Child Loop BB2_312 Depth 2
                                        ;     Child Loop BB2_320 Depth 2
                                        ;     Child Loop BB2_328 Depth 2
                                        ;     Child Loop BB2_336 Depth 2
                                        ;     Child Loop BB2_344 Depth 2
                                        ;     Child Loop BB2_352 Depth 2
                                        ;     Child Loop BB2_361 Depth 2
                                        ;     Child Loop BB2_366 Depth 2
	v_cmp_gt_u64_e32 vcc, 56, v[29:30]
	v_add_co_u32_e64 v15, s[4:5], 8, v5
	v_cndmask_b32_e32 v32, 0, v30, vcc
	v_cndmask_b32_e32 v31, 56, v29, vcc
	v_cmp_gt_u64_e32 vcc, 8, v[29:30]
	v_addc_co_u32_e64 v16, s[4:5], 0, v6, s[4:5]
	s_and_saveexec_b64 s[4:5], vcc
	s_xor_b64 s[4:5], exec, s[4:5]
	s_cbranch_execz .LBB2_291
; %bb.286:                              ;   in Loop: Header=BB2_285 Depth=1
	v_mov_b32_e32 v2, 0
	v_cmp_ne_u64_e32 vcc, 0, v[29:30]
	v_mov_b32_e32 v3, 0
	s_and_saveexec_b64 s[14:15], vcc
	s_cbranch_execz .LBB2_290
; %bb.287:                              ;   in Loop: Header=BB2_285 Depth=1
	v_lshlrev_b64 v[9:10], 3, v[31:32]
	v_mov_b32_e32 v2, 0
	v_mov_b32_e32 v14, v6
	s_mov_b64 s[16:17], 0
	v_mov_b32_e32 v3, 0
	v_mov_b32_e32 v13, v5
	s_mov_b64 s[18:19], 0
.LBB2_288:                              ;   Parent Loop BB2_285 Depth=1
                                        ; =>  This Inner Loop Header: Depth=2
	global_load_ubyte v10, v[13:14], off
	v_mov_b32_e32 v16, s22
	v_add_co_u32_e32 v13, vcc, 1, v13
	v_addc_co_u32_e32 v14, vcc, 0, v14, vcc
	s_waitcnt vmcnt(0)
	v_and_b32_e32 v15, 0xffff, v10
	v_lshlrev_b64 v[15:16], s18, v[15:16]
	s_add_u32 s18, s18, 8
	s_addc_u32 s19, s19, 0
	v_cmp_eq_u32_e32 vcc, s18, v9
	v_or_b32_e32 v3, v16, v3
	s_or_b64 s[16:17], vcc, s[16:17]
	v_or_b32_e32 v2, v15, v2
	s_andn2_b64 exec, exec, s[16:17]
	s_cbranch_execnz .LBB2_288
; %bb.289:                              ;   in Loop: Header=BB2_285 Depth=1
	s_or_b64 exec, exec, s[16:17]
.LBB2_290:                              ;   in Loop: Header=BB2_285 Depth=1
	s_or_b64 exec, exec, s[14:15]
	v_mov_b32_e32 v16, v6
	v_mov_b32_e32 v15, v5
.LBB2_291:                              ;   in Loop: Header=BB2_285 Depth=1
	s_or_saveexec_b64 s[4:5], s[4:5]
	v_mov_b32_e32 v17, 0
	s_xor_b64 exec, exec, s[4:5]
	s_cbranch_execz .LBB2_293
; %bb.292:                              ;   in Loop: Header=BB2_285 Depth=1
	global_load_dwordx2 v[2:3], v[5:6], off
	v_add_u32_e32 v17, -8, v31
.LBB2_293:                              ;   in Loop: Header=BB2_285 Depth=1
	s_or_b64 exec, exec, s[4:5]
	v_add_co_u32_e64 v9, s[4:5], 8, v15
	v_cmp_gt_u32_e32 vcc, 8, v17
	v_addc_co_u32_e64 v10, s[4:5], 0, v16, s[4:5]
                                        ; implicit-def: $vgpr13_vgpr14
	s_and_saveexec_b64 s[4:5], vcc
	s_xor_b64 s[4:5], exec, s[4:5]
	s_cbranch_execz .LBB2_299
; %bb.294:                              ;   in Loop: Header=BB2_285 Depth=1
	v_mov_b32_e32 v13, 0
	v_mov_b32_e32 v14, 0
	v_cmp_ne_u32_e32 vcc, 0, v17
	s_and_saveexec_b64 s[14:15], vcc
	s_cbranch_execz .LBB2_298
; %bb.295:                              ;   in Loop: Header=BB2_285 Depth=1
	v_mov_b32_e32 v13, 0
	s_mov_b64 s[16:17], 0
	v_mov_b32_e32 v14, 0
	s_mov_b64 s[18:19], 0
	s_mov_b64 s[20:21], 0
.LBB2_296:                              ;   Parent Loop BB2_285 Depth=1
                                        ; =>  This Inner Loop Header: Depth=2
	v_mov_b32_e32 v10, s21
	v_add_co_u32_e32 v9, vcc, s20, v15
	v_addc_co_u32_e32 v10, vcc, v16, v10, vcc
	global_load_ubyte v9, v[9:10], off
	s_add_u32 s20, s20, 1
	v_mov_b32_e32 v10, s22
	s_addc_u32 s21, s21, 0
	v_cmp_eq_u32_e32 vcc, s20, v17
	s_waitcnt vmcnt(0)
	v_and_b32_e32 v9, 0xffff, v9
	v_lshlrev_b64 v[9:10], s18, v[9:10]
	s_add_u32 s18, s18, 8
	s_addc_u32 s19, s19, 0
	v_or_b32_e32 v14, v10, v14
	s_or_b64 s[16:17], vcc, s[16:17]
	v_or_b32_e32 v13, v9, v13
	s_andn2_b64 exec, exec, s[16:17]
	s_cbranch_execnz .LBB2_296
; %bb.297:                              ;   in Loop: Header=BB2_285 Depth=1
	s_or_b64 exec, exec, s[16:17]
.LBB2_298:                              ;   in Loop: Header=BB2_285 Depth=1
	s_or_b64 exec, exec, s[14:15]
	v_mov_b32_e32 v9, v15
	v_mov_b32_e32 v10, v16
                                        ; implicit-def: $vgpr17
.LBB2_299:                              ;   in Loop: Header=BB2_285 Depth=1
	s_or_saveexec_b64 s[4:5], s[4:5]
	v_mov_b32_e32 v18, 0
	s_xor_b64 exec, exec, s[4:5]
	s_cbranch_execz .LBB2_301
; %bb.300:                              ;   in Loop: Header=BB2_285 Depth=1
	global_load_dwordx2 v[13:14], v[15:16], off
	v_add_u32_e32 v18, -8, v17
.LBB2_301:                              ;   in Loop: Header=BB2_285 Depth=1
	s_or_b64 exec, exec, s[4:5]
	v_add_co_u32_e64 v19, s[4:5], 8, v9
	v_cmp_gt_u32_e32 vcc, 8, v18
	v_addc_co_u32_e64 v20, s[4:5], 0, v10, s[4:5]
	s_and_saveexec_b64 s[4:5], vcc
	s_xor_b64 s[4:5], exec, s[4:5]
	s_cbranch_execz .LBB2_307
; %bb.302:                              ;   in Loop: Header=BB2_285 Depth=1
	v_mov_b32_e32 v15, 0
	v_mov_b32_e32 v16, 0
	v_cmp_ne_u32_e32 vcc, 0, v18
	s_and_saveexec_b64 s[14:15], vcc
	s_cbranch_execz .LBB2_306
; %bb.303:                              ;   in Loop: Header=BB2_285 Depth=1
	v_mov_b32_e32 v15, 0
	s_mov_b64 s[16:17], 0
	v_mov_b32_e32 v16, 0
	s_mov_b64 s[18:19], 0
	s_mov_b64 s[20:21], 0
.LBB2_304:                              ;   Parent Loop BB2_285 Depth=1
                                        ; =>  This Inner Loop Header: Depth=2
	v_mov_b32_e32 v17, s21
	v_add_co_u32_e32 v19, vcc, s20, v9
	v_addc_co_u32_e32 v20, vcc, v10, v17, vcc
	global_load_ubyte v17, v[19:20], off
	s_add_u32 s20, s20, 1
	v_mov_b32_e32 v20, s22
	s_addc_u32 s21, s21, 0
	v_cmp_eq_u32_e32 vcc, s20, v18
	s_waitcnt vmcnt(0)
	v_and_b32_e32 v19, 0xffff, v17
	v_lshlrev_b64 v[19:20], s18, v[19:20]
	s_add_u32 s18, s18, 8
	s_addc_u32 s19, s19, 0
	v_or_b32_e32 v16, v20, v16
	s_or_b64 s[16:17], vcc, s[16:17]
	v_or_b32_e32 v15, v19, v15
	s_andn2_b64 exec, exec, s[16:17]
	s_cbranch_execnz .LBB2_304
; %bb.305:                              ;   in Loop: Header=BB2_285 Depth=1
	s_or_b64 exec, exec, s[16:17]
.LBB2_306:                              ;   in Loop: Header=BB2_285 Depth=1
	s_or_b64 exec, exec, s[14:15]
	v_mov_b32_e32 v20, v10
	v_mov_b32_e32 v19, v9
                                        ; implicit-def: $vgpr18
.LBB2_307:                              ;   in Loop: Header=BB2_285 Depth=1
	s_or_saveexec_b64 s[4:5], s[4:5]
	v_mov_b32_e32 v21, 0
	s_xor_b64 exec, exec, s[4:5]
	s_cbranch_execz .LBB2_309
; %bb.308:                              ;   in Loop: Header=BB2_285 Depth=1
	global_load_dwordx2 v[15:16], v[9:10], off
	v_add_u32_e32 v21, -8, v18
.LBB2_309:                              ;   in Loop: Header=BB2_285 Depth=1
	s_or_b64 exec, exec, s[4:5]
	v_add_co_u32_e64 v9, s[4:5], 8, v19
	v_cmp_gt_u32_e32 vcc, 8, v21
	v_addc_co_u32_e64 v10, s[4:5], 0, v20, s[4:5]
                                        ; implicit-def: $vgpr17_vgpr18
	s_and_saveexec_b64 s[4:5], vcc
	s_xor_b64 s[4:5], exec, s[4:5]
	s_cbranch_execz .LBB2_315
; %bb.310:                              ;   in Loop: Header=BB2_285 Depth=1
	v_mov_b32_e32 v17, 0
	v_mov_b32_e32 v18, 0
	v_cmp_ne_u32_e32 vcc, 0, v21
	s_and_saveexec_b64 s[14:15], vcc
	s_cbranch_execz .LBB2_314
; %bb.311:                              ;   in Loop: Header=BB2_285 Depth=1
	v_mov_b32_e32 v17, 0
	s_mov_b64 s[16:17], 0
	v_mov_b32_e32 v18, 0
	s_mov_b64 s[18:19], 0
	s_mov_b64 s[20:21], 0
.LBB2_312:                              ;   Parent Loop BB2_285 Depth=1
                                        ; =>  This Inner Loop Header: Depth=2
	v_mov_b32_e32 v10, s21
	v_add_co_u32_e32 v9, vcc, s20, v19
	v_addc_co_u32_e32 v10, vcc, v20, v10, vcc
	global_load_ubyte v9, v[9:10], off
	s_add_u32 s20, s20, 1
	v_mov_b32_e32 v10, s22
	s_addc_u32 s21, s21, 0
	v_cmp_eq_u32_e32 vcc, s20, v21
	s_waitcnt vmcnt(0)
	v_and_b32_e32 v9, 0xffff, v9
	v_lshlrev_b64 v[9:10], s18, v[9:10]
	s_add_u32 s18, s18, 8
	s_addc_u32 s19, s19, 0
	v_or_b32_e32 v18, v10, v18
	s_or_b64 s[16:17], vcc, s[16:17]
	v_or_b32_e32 v17, v9, v17
	s_andn2_b64 exec, exec, s[16:17]
	s_cbranch_execnz .LBB2_312
; %bb.313:                              ;   in Loop: Header=BB2_285 Depth=1
	s_or_b64 exec, exec, s[16:17]
.LBB2_314:                              ;   in Loop: Header=BB2_285 Depth=1
	s_or_b64 exec, exec, s[14:15]
	v_mov_b32_e32 v9, v19
	v_mov_b32_e32 v10, v20
                                        ; implicit-def: $vgpr21
.LBB2_315:                              ;   in Loop: Header=BB2_285 Depth=1
	s_or_saveexec_b64 s[4:5], s[4:5]
	v_mov_b32_e32 v22, 0
	s_xor_b64 exec, exec, s[4:5]
	s_cbranch_execz .LBB2_317
; %bb.316:                              ;   in Loop: Header=BB2_285 Depth=1
	global_load_dwordx2 v[17:18], v[19:20], off
	v_add_u32_e32 v22, -8, v21
.LBB2_317:                              ;   in Loop: Header=BB2_285 Depth=1
	s_or_b64 exec, exec, s[4:5]
	v_add_co_u32_e64 v23, s[4:5], 8, v9
	v_cmp_gt_u32_e32 vcc, 8, v22
	v_addc_co_u32_e64 v24, s[4:5], 0, v10, s[4:5]
	s_and_saveexec_b64 s[4:5], vcc
	s_xor_b64 s[4:5], exec, s[4:5]
	s_cbranch_execz .LBB2_323
; %bb.318:                              ;   in Loop: Header=BB2_285 Depth=1
	v_mov_b32_e32 v19, 0
	v_mov_b32_e32 v20, 0
	v_cmp_ne_u32_e32 vcc, 0, v22
	s_and_saveexec_b64 s[14:15], vcc
	s_cbranch_execz .LBB2_322
; %bb.319:                              ;   in Loop: Header=BB2_285 Depth=1
	v_mov_b32_e32 v19, 0
	s_mov_b64 s[16:17], 0
	v_mov_b32_e32 v20, 0
	s_mov_b64 s[18:19], 0
	s_mov_b64 s[20:21], 0
.LBB2_320:                              ;   Parent Loop BB2_285 Depth=1
                                        ; =>  This Inner Loop Header: Depth=2
	v_mov_b32_e32 v21, s21
	v_add_co_u32_e32 v23, vcc, s20, v9
	v_addc_co_u32_e32 v24, vcc, v10, v21, vcc
	global_load_ubyte v21, v[23:24], off
	s_add_u32 s20, s20, 1
	v_mov_b32_e32 v24, s22
	s_addc_u32 s21, s21, 0
	v_cmp_eq_u32_e32 vcc, s20, v22
	s_waitcnt vmcnt(0)
	v_and_b32_e32 v23, 0xffff, v21
	v_lshlrev_b64 v[23:24], s18, v[23:24]
	s_add_u32 s18, s18, 8
	s_addc_u32 s19, s19, 0
	v_or_b32_e32 v20, v24, v20
	s_or_b64 s[16:17], vcc, s[16:17]
	v_or_b32_e32 v19, v23, v19
	s_andn2_b64 exec, exec, s[16:17]
	s_cbranch_execnz .LBB2_320
; %bb.321:                              ;   in Loop: Header=BB2_285 Depth=1
	s_or_b64 exec, exec, s[16:17]
.LBB2_322:                              ;   in Loop: Header=BB2_285 Depth=1
	s_or_b64 exec, exec, s[14:15]
	v_mov_b32_e32 v24, v10
	v_mov_b32_e32 v23, v9
                                        ; implicit-def: $vgpr22
.LBB2_323:                              ;   in Loop: Header=BB2_285 Depth=1
	s_or_saveexec_b64 s[4:5], s[4:5]
	v_mov_b32_e32 v25, 0
	s_xor_b64 exec, exec, s[4:5]
	s_cbranch_execz .LBB2_325
; %bb.324:                              ;   in Loop: Header=BB2_285 Depth=1
	global_load_dwordx2 v[19:20], v[9:10], off
	v_add_u32_e32 v25, -8, v22
.LBB2_325:                              ;   in Loop: Header=BB2_285 Depth=1
	s_or_b64 exec, exec, s[4:5]
	v_add_co_u32_e64 v9, s[4:5], 8, v23
	v_cmp_gt_u32_e32 vcc, 8, v25
	v_addc_co_u32_e64 v10, s[4:5], 0, v24, s[4:5]
                                        ; implicit-def: $vgpr21_vgpr22
	s_and_saveexec_b64 s[4:5], vcc
	s_xor_b64 s[4:5], exec, s[4:5]
	s_cbranch_execz .LBB2_331
; %bb.326:                              ;   in Loop: Header=BB2_285 Depth=1
	v_mov_b32_e32 v21, 0
	v_mov_b32_e32 v22, 0
	v_cmp_ne_u32_e32 vcc, 0, v25
	s_and_saveexec_b64 s[14:15], vcc
	s_cbranch_execz .LBB2_330
; %bb.327:                              ;   in Loop: Header=BB2_285 Depth=1
	v_mov_b32_e32 v21, 0
	s_mov_b64 s[16:17], 0
	v_mov_b32_e32 v22, 0
	s_mov_b64 s[18:19], 0
	s_mov_b64 s[20:21], 0
.LBB2_328:                              ;   Parent Loop BB2_285 Depth=1
                                        ; =>  This Inner Loop Header: Depth=2
	v_mov_b32_e32 v10, s21
	v_add_co_u32_e32 v9, vcc, s20, v23
	v_addc_co_u32_e32 v10, vcc, v24, v10, vcc
	global_load_ubyte v9, v[9:10], off
	s_add_u32 s20, s20, 1
	v_mov_b32_e32 v10, s22
	s_addc_u32 s21, s21, 0
	v_cmp_eq_u32_e32 vcc, s20, v25
	s_waitcnt vmcnt(0)
	v_and_b32_e32 v9, 0xffff, v9
	v_lshlrev_b64 v[9:10], s18, v[9:10]
	s_add_u32 s18, s18, 8
	s_addc_u32 s19, s19, 0
	v_or_b32_e32 v22, v10, v22
	s_or_b64 s[16:17], vcc, s[16:17]
	v_or_b32_e32 v21, v9, v21
	s_andn2_b64 exec, exec, s[16:17]
	s_cbranch_execnz .LBB2_328
; %bb.329:                              ;   in Loop: Header=BB2_285 Depth=1
	s_or_b64 exec, exec, s[16:17]
.LBB2_330:                              ;   in Loop: Header=BB2_285 Depth=1
	s_or_b64 exec, exec, s[14:15]
	v_mov_b32_e32 v9, v23
	v_mov_b32_e32 v10, v24
                                        ; implicit-def: $vgpr25
.LBB2_331:                              ;   in Loop: Header=BB2_285 Depth=1
	s_or_saveexec_b64 s[4:5], s[4:5]
	v_mov_b32_e32 v26, 0
	s_xor_b64 exec, exec, s[4:5]
	s_cbranch_execz .LBB2_333
; %bb.332:                              ;   in Loop: Header=BB2_285 Depth=1
	global_load_dwordx2 v[21:22], v[23:24], off
	v_add_u32_e32 v26, -8, v25
.LBB2_333:                              ;   in Loop: Header=BB2_285 Depth=1
	s_or_b64 exec, exec, s[4:5]
	v_cmp_gt_u32_e32 vcc, 8, v26
	s_and_saveexec_b64 s[4:5], vcc
	s_xor_b64 s[4:5], exec, s[4:5]
	s_cbranch_execz .LBB2_339
; %bb.334:                              ;   in Loop: Header=BB2_285 Depth=1
	v_mov_b32_e32 v23, 0
	v_mov_b32_e32 v24, 0
	v_cmp_ne_u32_e32 vcc, 0, v26
	s_and_saveexec_b64 s[14:15], vcc
	s_cbranch_execz .LBB2_338
; %bb.335:                              ;   in Loop: Header=BB2_285 Depth=1
	v_mov_b32_e32 v23, 0
	s_mov_b64 s[16:17], 0
	v_mov_b32_e32 v24, 0
	s_mov_b64 s[18:19], 0
.LBB2_336:                              ;   Parent Loop BB2_285 Depth=1
                                        ; =>  This Inner Loop Header: Depth=2
	global_load_ubyte v25, v[9:10], off
	v_mov_b32_e32 v28, s22
	v_add_co_u32_e32 v9, vcc, 1, v9
	v_add_u32_e32 v26, -1, v26
	v_addc_co_u32_e32 v10, vcc, 0, v10, vcc
	v_cmp_eq_u32_e32 vcc, 0, v26
	s_waitcnt vmcnt(0)
	v_and_b32_e32 v27, 0xffff, v25
	v_lshlrev_b64 v[27:28], s18, v[27:28]
	s_add_u32 s18, s18, 8
	s_addc_u32 s19, s19, 0
	v_or_b32_e32 v24, v28, v24
	s_or_b64 s[16:17], vcc, s[16:17]
	v_or_b32_e32 v23, v27, v23
	s_andn2_b64 exec, exec, s[16:17]
	s_cbranch_execnz .LBB2_336
; %bb.337:                              ;   in Loop: Header=BB2_285 Depth=1
	s_or_b64 exec, exec, s[16:17]
.LBB2_338:                              ;   in Loop: Header=BB2_285 Depth=1
	s_or_b64 exec, exec, s[14:15]
                                        ; implicit-def: $vgpr9_vgpr10
.LBB2_339:                              ;   in Loop: Header=BB2_285 Depth=1
	s_andn2_saveexec_b64 s[4:5], s[4:5]
	s_cbranch_execz .LBB2_341
; %bb.340:                              ;   in Loop: Header=BB2_285 Depth=1
	global_load_dwordx2 v[23:24], v[9:10], off
.LBB2_341:                              ;   in Loop: Header=BB2_285 Depth=1
	s_or_b64 exec, exec, s[4:5]
	v_readfirstlane_b32 s4, v38
	v_mov_b32_e32 v9, 0
	v_mov_b32_e32 v10, 0
	v_cmp_eq_u32_e64 s[4:5], s4, v38
	s_and_saveexec_b64 s[14:15], s[4:5]
	s_cbranch_execz .LBB2_347
; %bb.342:                              ;   in Loop: Header=BB2_285 Depth=1
	global_load_dwordx2 v[27:28], v4, s[10:11] offset:24 glc
	s_waitcnt vmcnt(0)
	buffer_wbinvl1_vol
	global_load_dwordx2 v[9:10], v4, s[10:11] offset:40
	global_load_dwordx2 v[25:26], v4, s[10:11]
	s_waitcnt vmcnt(1)
	v_and_b32_e32 v9, v9, v27
	v_and_b32_e32 v10, v10, v28
	v_mul_lo_u32 v10, v10, 24
	v_mul_hi_u32 v33, v9, 24
	v_mul_lo_u32 v9, v9, 24
	v_add_u32_e32 v10, v33, v10
	s_waitcnt vmcnt(0)
	v_add_co_u32_e32 v9, vcc, v25, v9
	v_addc_co_u32_e32 v10, vcc, v26, v10, vcc
	global_load_dwordx2 v[25:26], v[9:10], off glc
	s_waitcnt vmcnt(0)
	global_atomic_cmpswap_x2 v[9:10], v4, v[25:28], s[10:11] offset:24 glc
	s_waitcnt vmcnt(0)
	buffer_wbinvl1_vol
	v_cmp_ne_u64_e32 vcc, v[9:10], v[27:28]
	s_and_saveexec_b64 s[16:17], vcc
	s_cbranch_execz .LBB2_346
; %bb.343:                              ;   in Loop: Header=BB2_285 Depth=1
	s_mov_b64 s[18:19], 0
.LBB2_344:                              ;   Parent Loop BB2_285 Depth=1
                                        ; =>  This Inner Loop Header: Depth=2
	s_sleep 1
	global_load_dwordx2 v[25:26], v4, s[10:11] offset:40
	global_load_dwordx2 v[33:34], v4, s[10:11]
	v_mov_b32_e32 v28, v10
	v_mov_b32_e32 v27, v9
	s_waitcnt vmcnt(1)
	v_and_b32_e32 v9, v25, v27
	s_waitcnt vmcnt(0)
	v_mad_u64_u32 v[9:10], s[20:21], v9, 24, v[33:34]
	v_and_b32_e32 v25, v26, v28
	v_mad_u64_u32 v[25:26], s[20:21], v25, 24, v[10:11]
	v_mov_b32_e32 v10, v25
	global_load_dwordx2 v[25:26], v[9:10], off glc
	s_waitcnt vmcnt(0)
	global_atomic_cmpswap_x2 v[9:10], v4, v[25:28], s[10:11] offset:24 glc
	s_waitcnt vmcnt(0)
	buffer_wbinvl1_vol
	v_cmp_eq_u64_e32 vcc, v[9:10], v[27:28]
	s_or_b64 s[18:19], vcc, s[18:19]
	s_andn2_b64 exec, exec, s[18:19]
	s_cbranch_execnz .LBB2_344
; %bb.345:                              ;   in Loop: Header=BB2_285 Depth=1
	s_or_b64 exec, exec, s[18:19]
.LBB2_346:                              ;   in Loop: Header=BB2_285 Depth=1
	s_or_b64 exec, exec, s[16:17]
.LBB2_347:                              ;   in Loop: Header=BB2_285 Depth=1
	s_or_b64 exec, exec, s[14:15]
	global_load_dwordx2 v[33:34], v4, s[10:11] offset:40
	global_load_dwordx4 v[25:28], v4, s[10:11]
	v_readfirstlane_b32 s15, v10
	v_readfirstlane_b32 s14, v9
	s_mov_b64 s[16:17], exec
	s_waitcnt vmcnt(1)
	v_readfirstlane_b32 s18, v33
	v_readfirstlane_b32 s19, v34
	s_and_b64 s[18:19], s[18:19], s[14:15]
	s_mul_i32 s20, s19, 24
	s_mul_hi_u32 s21, s18, 24
	s_mul_i32 s24, s18, 24
	s_add_i32 s20, s21, s20
	v_mov_b32_e32 v9, s20
	s_waitcnt vmcnt(0)
	v_add_co_u32_e32 v33, vcc, s24, v25
	v_addc_co_u32_e32 v34, vcc, v26, v9, vcc
	s_and_saveexec_b64 s[20:21], s[4:5]
	s_cbranch_execz .LBB2_349
; %bb.348:                              ;   in Loop: Header=BB2_285 Depth=1
	v_mov_b32_e32 v9, s16
	v_mov_b32_e32 v10, s17
	global_store_dwordx4 v[33:34], v[9:12], off offset:8
.LBB2_349:                              ;   in Loop: Header=BB2_285 Depth=1
	s_or_b64 exec, exec, s[20:21]
	s_lshl_b64 s[16:17], s[18:19], 12
	v_mov_b32_e32 v9, s17
	v_add_co_u32_e32 v27, vcc, s16, v27
	v_addc_co_u32_e32 v28, vcc, v28, v9, vcc
	v_cmp_gt_u64_e32 vcc, 57, v[29:30]
	v_and_b32_e32 v0, 0xffffff1f, v0
	v_cndmask_b32_e32 v9, 0, v35, vcc
	v_lshl_add_u32 v10, v31, 2, 28
	v_or_b32_e32 v0, v0, v9
	v_and_or_b32 v0, v10, s23, v0
	v_readfirstlane_b32 s16, v27
	v_readfirstlane_b32 s17, v28
	s_nop 4
	global_store_dwordx4 v39, v[0:3], s[16:17]
	global_store_dwordx4 v39, v[13:16], s[16:17] offset:16
	global_store_dwordx4 v39, v[17:20], s[16:17] offset:32
	;; [unrolled: 1-line block ×3, first 2 shown]
	s_and_saveexec_b64 s[16:17], s[4:5]
	s_cbranch_execz .LBB2_357
; %bb.350:                              ;   in Loop: Header=BB2_285 Depth=1
	global_load_dwordx2 v[15:16], v4, s[10:11] offset:32 glc
	global_load_dwordx2 v[0:1], v4, s[10:11] offset:40
	v_mov_b32_e32 v13, s14
	v_mov_b32_e32 v14, s15
	s_waitcnt vmcnt(0)
	v_readfirstlane_b32 s18, v0
	v_readfirstlane_b32 s19, v1
	s_and_b64 s[18:19], s[18:19], s[14:15]
	s_mul_i32 s19, s19, 24
	s_mul_hi_u32 s20, s18, 24
	s_mul_i32 s18, s18, 24
	s_add_i32 s19, s20, s19
	v_mov_b32_e32 v0, s19
	v_add_co_u32_e32 v9, vcc, s18, v25
	v_addc_co_u32_e32 v10, vcc, v26, v0, vcc
	global_store_dwordx2 v[9:10], v[15:16], off
	s_waitcnt vmcnt(0)
	global_atomic_cmpswap_x2 v[2:3], v4, v[13:16], s[10:11] offset:32 glc
	s_waitcnt vmcnt(0)
	v_cmp_ne_u64_e32 vcc, v[2:3], v[15:16]
	s_and_saveexec_b64 s[18:19], vcc
	s_cbranch_execz .LBB2_353
; %bb.351:                              ;   in Loop: Header=BB2_285 Depth=1
	s_mov_b64 s[20:21], 0
.LBB2_352:                              ;   Parent Loop BB2_285 Depth=1
                                        ; =>  This Inner Loop Header: Depth=2
	s_sleep 1
	global_store_dwordx2 v[9:10], v[2:3], off
	v_mov_b32_e32 v0, s14
	v_mov_b32_e32 v1, s15
	s_waitcnt vmcnt(0)
	global_atomic_cmpswap_x2 v[0:1], v4, v[0:3], s[10:11] offset:32 glc
	s_waitcnt vmcnt(0)
	v_cmp_eq_u64_e32 vcc, v[0:1], v[2:3]
	v_mov_b32_e32 v3, v1
	s_or_b64 s[20:21], vcc, s[20:21]
	v_mov_b32_e32 v2, v0
	s_andn2_b64 exec, exec, s[20:21]
	s_cbranch_execnz .LBB2_352
.LBB2_353:                              ;   in Loop: Header=BB2_285 Depth=1
	s_or_b64 exec, exec, s[18:19]
	global_load_dwordx2 v[0:1], v4, s[10:11] offset:16
	s_mov_b64 s[20:21], exec
	v_mbcnt_lo_u32_b32 v2, s20, 0
	v_mbcnt_hi_u32_b32 v2, s21, v2
	v_cmp_eq_u32_e32 vcc, 0, v2
	s_and_saveexec_b64 s[18:19], vcc
	s_cbranch_execz .LBB2_355
; %bb.354:                              ;   in Loop: Header=BB2_285 Depth=1
	s_bcnt1_i32_b64 s20, s[20:21]
	v_mov_b32_e32 v3, s20
	s_waitcnt vmcnt(0)
	global_atomic_add_x2 v[0:1], v[3:4], off offset:8
.LBB2_355:                              ;   in Loop: Header=BB2_285 Depth=1
	s_or_b64 exec, exec, s[18:19]
	s_waitcnt vmcnt(0)
	global_load_dwordx2 v[9:10], v[0:1], off offset:16
	s_waitcnt vmcnt(0)
	v_cmp_eq_u64_e32 vcc, 0, v[9:10]
	s_cbranch_vccnz .LBB2_357
; %bb.356:                              ;   in Loop: Header=BB2_285 Depth=1
	global_load_dword v3, v[0:1], off offset:24
	s_waitcnt vmcnt(0)
	v_readfirstlane_b32 s18, v3
	s_and_b32 m0, s18, 0xffffff
	global_store_dwordx2 v[9:10], v[3:4], off
	s_sendmsg sendmsg(MSG_INTERRUPT)
.LBB2_357:                              ;   in Loop: Header=BB2_285 Depth=1
	s_or_b64 exec, exec, s[16:17]
	v_add_co_u32_e32 v0, vcc, v27, v39
	v_addc_co_u32_e32 v1, vcc, 0, v28, vcc
	s_branch .LBB2_361
.LBB2_358:                              ;   in Loop: Header=BB2_361 Depth=2
	s_or_b64 exec, exec, s[16:17]
	v_readfirstlane_b32 s16, v2
	s_cmp_eq_u32 s16, 0
	s_cbranch_scc1 .LBB2_360
; %bb.359:                              ;   in Loop: Header=BB2_361 Depth=2
	s_sleep 1
	s_cbranch_execnz .LBB2_361
	s_branch .LBB2_363
.LBB2_360:                              ;   in Loop: Header=BB2_285 Depth=1
	s_branch .LBB2_363
.LBB2_361:                              ;   Parent Loop BB2_285 Depth=1
                                        ; =>  This Inner Loop Header: Depth=2
	v_mov_b32_e32 v2, 1
	s_and_saveexec_b64 s[16:17], s[4:5]
	s_cbranch_execz .LBB2_358
; %bb.362:                              ;   in Loop: Header=BB2_361 Depth=2
	global_load_dword v2, v[33:34], off offset:20 glc
	s_waitcnt vmcnt(0)
	buffer_wbinvl1_vol
	v_and_b32_e32 v2, 1, v2
	s_branch .LBB2_358
.LBB2_363:                              ;   in Loop: Header=BB2_285 Depth=1
	global_load_dwordx2 v[0:1], v[0:1], off
	s_and_saveexec_b64 s[16:17], s[4:5]
	s_cbranch_execz .LBB2_284
; %bb.364:                              ;   in Loop: Header=BB2_285 Depth=1
	global_load_dwordx2 v[2:3], v4, s[10:11] offset:40
	global_load_dwordx2 v[17:18], v4, s[10:11] offset:24 glc
	global_load_dwordx2 v[9:10], v4, s[10:11]
	s_waitcnt vmcnt(2)
	v_readfirstlane_b32 s18, v2
	v_readfirstlane_b32 s19, v3
	s_add_u32 s20, s18, 1
	s_addc_u32 s21, s19, 0
	s_add_u32 s4, s20, s14
	s_addc_u32 s5, s21, s15
	s_cmp_eq_u64 s[4:5], 0
	s_cselect_b32 s5, s21, s5
	s_cselect_b32 s4, s20, s4
	s_and_b64 s[14:15], s[4:5], s[18:19]
	s_mul_i32 s15, s15, 24
	s_mul_hi_u32 s18, s14, 24
	s_mul_i32 s14, s14, 24
	s_add_i32 s15, s18, s15
	v_mov_b32_e32 v3, s15
	s_waitcnt vmcnt(0)
	v_add_co_u32_e32 v2, vcc, s14, v9
	v_addc_co_u32_e32 v3, vcc, v10, v3, vcc
	v_mov_b32_e32 v15, s4
	global_store_dwordx2 v[2:3], v[17:18], off
	v_mov_b32_e32 v16, s5
	s_waitcnt vmcnt(0)
	global_atomic_cmpswap_x2 v[15:16], v4, v[15:18], s[10:11] offset:24 glc
	s_waitcnt vmcnt(0)
	v_cmp_ne_u64_e32 vcc, v[15:16], v[17:18]
	s_and_b64 exec, exec, vcc
	s_cbranch_execz .LBB2_284
; %bb.365:                              ;   in Loop: Header=BB2_285 Depth=1
	s_mov_b64 s[14:15], 0
.LBB2_366:                              ;   Parent Loop BB2_285 Depth=1
                                        ; =>  This Inner Loop Header: Depth=2
	s_sleep 1
	global_store_dwordx2 v[2:3], v[15:16], off
	v_mov_b32_e32 v13, s4
	v_mov_b32_e32 v14, s5
	s_waitcnt vmcnt(0)
	global_atomic_cmpswap_x2 v[9:10], v4, v[13:16], s[10:11] offset:24 glc
	s_waitcnt vmcnt(0)
	v_cmp_eq_u64_e32 vcc, v[9:10], v[15:16]
	v_mov_b32_e32 v16, v10
	s_or_b64 s[14:15], vcc, s[14:15]
	v_mov_b32_e32 v15, v9
	s_andn2_b64 exec, exec, s[14:15]
	s_cbranch_execnz .LBB2_366
	s_branch .LBB2_284
.LBB2_367:
	s_or_b64 exec, exec, s[12:13]
                                        ; implicit-def: $vgpr39
                                        ; implicit-def: $vgpr38
.LBB2_368:
	s_andn2_saveexec_b64 s[6:7], s[6:7]
	s_cbranch_execz .LBB2_395
; %bb.369:
	v_readfirstlane_b32 s4, v38
	v_mov_b32_e32 v3, 0
	v_mov_b32_e32 v4, 0
	v_cmp_eq_u32_e64 s[4:5], s4, v38
	s_and_saveexec_b64 s[12:13], s[4:5]
	s_cbranch_execz .LBB2_375
; %bb.370:
	v_mov_b32_e32 v2, 0
	global_load_dwordx2 v[5:6], v2, s[10:11] offset:24 glc
	s_waitcnt vmcnt(0)
	buffer_wbinvl1_vol
	global_load_dwordx2 v[3:4], v2, s[10:11] offset:40
	global_load_dwordx2 v[9:10], v2, s[10:11]
	s_waitcnt vmcnt(1)
	v_and_b32_e32 v3, v3, v5
	v_and_b32_e32 v4, v4, v6
	v_mul_lo_u32 v4, v4, 24
	v_mul_hi_u32 v11, v3, 24
	v_mul_lo_u32 v3, v3, 24
	v_add_u32_e32 v4, v11, v4
	s_waitcnt vmcnt(0)
	v_add_co_u32_e32 v3, vcc, v9, v3
	v_addc_co_u32_e32 v4, vcc, v10, v4, vcc
	global_load_dwordx2 v[3:4], v[3:4], off glc
	s_waitcnt vmcnt(0)
	global_atomic_cmpswap_x2 v[3:4], v2, v[3:6], s[10:11] offset:24 glc
	s_waitcnt vmcnt(0)
	buffer_wbinvl1_vol
	v_cmp_ne_u64_e32 vcc, v[3:4], v[5:6]
	s_and_saveexec_b64 s[14:15], vcc
	s_cbranch_execz .LBB2_374
; %bb.371:
	s_mov_b64 s[16:17], 0
.LBB2_372:                              ; =>This Inner Loop Header: Depth=1
	s_sleep 1
	global_load_dwordx2 v[9:10], v2, s[10:11] offset:40
	global_load_dwordx2 v[11:12], v2, s[10:11]
	v_mov_b32_e32 v6, v4
	v_mov_b32_e32 v5, v3
	s_waitcnt vmcnt(1)
	v_and_b32_e32 v3, v9, v5
	s_waitcnt vmcnt(0)
	v_mad_u64_u32 v[3:4], s[18:19], v3, 24, v[11:12]
	v_and_b32_e32 v9, v10, v6
	v_mad_u64_u32 v[9:10], s[18:19], v9, 24, v[4:5]
	v_mov_b32_e32 v4, v9
	global_load_dwordx2 v[3:4], v[3:4], off glc
	s_waitcnt vmcnt(0)
	global_atomic_cmpswap_x2 v[3:4], v2, v[3:6], s[10:11] offset:24 glc
	s_waitcnt vmcnt(0)
	buffer_wbinvl1_vol
	v_cmp_eq_u64_e32 vcc, v[3:4], v[5:6]
	s_or_b64 s[16:17], vcc, s[16:17]
	s_andn2_b64 exec, exec, s[16:17]
	s_cbranch_execnz .LBB2_372
; %bb.373:
	s_or_b64 exec, exec, s[16:17]
.LBB2_374:
	s_or_b64 exec, exec, s[14:15]
.LBB2_375:
	s_or_b64 exec, exec, s[12:13]
	v_mov_b32_e32 v2, 0
	global_load_dwordx2 v[5:6], v2, s[10:11] offset:40
	global_load_dwordx4 v[9:12], v2, s[10:11]
	v_readfirstlane_b32 s13, v4
	v_readfirstlane_b32 s12, v3
	s_mov_b64 s[14:15], exec
	s_waitcnt vmcnt(1)
	v_readfirstlane_b32 s16, v5
	v_readfirstlane_b32 s17, v6
	s_and_b64 s[16:17], s[16:17], s[12:13]
	s_mul_i32 s18, s17, 24
	s_mul_hi_u32 s19, s16, 24
	s_mul_i32 s20, s16, 24
	s_add_i32 s18, s19, s18
	v_mov_b32_e32 v3, s18
	s_waitcnt vmcnt(0)
	v_add_co_u32_e32 v4, vcc, s20, v9
	v_addc_co_u32_e32 v5, vcc, v10, v3, vcc
	s_and_saveexec_b64 s[18:19], s[4:5]
	s_cbranch_execz .LBB2_377
; %bb.376:
	v_mov_b32_e32 v13, s14
	v_mov_b32_e32 v14, s15
	;; [unrolled: 1-line block ×4, first 2 shown]
	global_store_dwordx4 v[4:5], v[13:16], off offset:8
.LBB2_377:
	s_or_b64 exec, exec, s[18:19]
	s_lshl_b64 s[14:15], s[16:17], 12
	v_mov_b32_e32 v3, s15
	v_add_co_u32_e32 v6, vcc, s14, v11
	v_addc_co_u32_e32 v13, vcc, v12, v3, vcc
	s_movk_i32 s14, 0xff1f
	v_and_or_b32 v0, v0, s14, 32
	s_mov_b32 s16, 0
	v_mov_b32_e32 v3, v2
	v_readfirstlane_b32 s14, v6
	v_readfirstlane_b32 s15, v13
	v_add_co_u32_e32 v11, vcc, v6, v39
	s_mov_b32 s17, s16
	s_mov_b32 s18, s16
	;; [unrolled: 1-line block ×3, first 2 shown]
	s_nop 0
	global_store_dwordx4 v39, v[0:3], s[14:15]
	v_addc_co_u32_e32 v12, vcc, 0, v13, vcc
	v_mov_b32_e32 v0, s16
	v_mov_b32_e32 v1, s17
	;; [unrolled: 1-line block ×4, first 2 shown]
	global_store_dwordx4 v39, v[0:3], s[14:15] offset:16
	global_store_dwordx4 v39, v[0:3], s[14:15] offset:32
	;; [unrolled: 1-line block ×3, first 2 shown]
	s_and_saveexec_b64 s[14:15], s[4:5]
	s_cbranch_execz .LBB2_385
; %bb.378:
	v_mov_b32_e32 v6, 0
	global_load_dwordx2 v[15:16], v6, s[10:11] offset:32 glc
	global_load_dwordx2 v[0:1], v6, s[10:11] offset:40
	v_mov_b32_e32 v13, s12
	v_mov_b32_e32 v14, s13
	s_waitcnt vmcnt(0)
	v_readfirstlane_b32 s16, v0
	v_readfirstlane_b32 s17, v1
	s_and_b64 s[16:17], s[16:17], s[12:13]
	s_mul_i32 s17, s17, 24
	s_mul_hi_u32 s18, s16, 24
	s_mul_i32 s16, s16, 24
	s_add_i32 s17, s18, s17
	v_mov_b32_e32 v0, s17
	v_add_co_u32_e32 v9, vcc, s16, v9
	v_addc_co_u32_e32 v10, vcc, v10, v0, vcc
	global_store_dwordx2 v[9:10], v[15:16], off
	s_waitcnt vmcnt(0)
	global_atomic_cmpswap_x2 v[2:3], v6, v[13:16], s[10:11] offset:32 glc
	s_waitcnt vmcnt(0)
	v_cmp_ne_u64_e32 vcc, v[2:3], v[15:16]
	s_and_saveexec_b64 s[16:17], vcc
	s_cbranch_execz .LBB2_381
; %bb.379:
	s_mov_b64 s[18:19], 0
.LBB2_380:                              ; =>This Inner Loop Header: Depth=1
	s_sleep 1
	global_store_dwordx2 v[9:10], v[2:3], off
	v_mov_b32_e32 v0, s12
	v_mov_b32_e32 v1, s13
	s_waitcnt vmcnt(0)
	global_atomic_cmpswap_x2 v[0:1], v6, v[0:3], s[10:11] offset:32 glc
	s_waitcnt vmcnt(0)
	v_cmp_eq_u64_e32 vcc, v[0:1], v[2:3]
	v_mov_b32_e32 v3, v1
	s_or_b64 s[18:19], vcc, s[18:19]
	v_mov_b32_e32 v2, v0
	s_andn2_b64 exec, exec, s[18:19]
	s_cbranch_execnz .LBB2_380
.LBB2_381:
	s_or_b64 exec, exec, s[16:17]
	v_mov_b32_e32 v3, 0
	global_load_dwordx2 v[0:1], v3, s[10:11] offset:16
	s_mov_b64 s[16:17], exec
	v_mbcnt_lo_u32_b32 v2, s16, 0
	v_mbcnt_hi_u32_b32 v2, s17, v2
	v_cmp_eq_u32_e32 vcc, 0, v2
	s_and_saveexec_b64 s[18:19], vcc
	s_cbranch_execz .LBB2_383
; %bb.382:
	s_bcnt1_i32_b64 s16, s[16:17]
	v_mov_b32_e32 v2, s16
	s_waitcnt vmcnt(0)
	global_atomic_add_x2 v[0:1], v[2:3], off offset:8
.LBB2_383:
	s_or_b64 exec, exec, s[18:19]
	s_waitcnt vmcnt(0)
	global_load_dwordx2 v[2:3], v[0:1], off offset:16
	s_waitcnt vmcnt(0)
	v_cmp_eq_u64_e32 vcc, 0, v[2:3]
	s_cbranch_vccnz .LBB2_385
; %bb.384:
	global_load_dword v0, v[0:1], off offset:24
	v_mov_b32_e32 v1, 0
	s_waitcnt vmcnt(0)
	v_readfirstlane_b32 s16, v0
	s_and_b32 m0, s16, 0xffffff
	global_store_dwordx2 v[2:3], v[0:1], off
	s_sendmsg sendmsg(MSG_INTERRUPT)
.LBB2_385:
	s_or_b64 exec, exec, s[14:15]
	s_branch .LBB2_389
.LBB2_386:                              ;   in Loop: Header=BB2_389 Depth=1
	s_or_b64 exec, exec, s[14:15]
	v_readfirstlane_b32 s14, v0
	s_cmp_eq_u32 s14, 0
	s_cbranch_scc1 .LBB2_388
; %bb.387:                              ;   in Loop: Header=BB2_389 Depth=1
	s_sleep 1
	s_cbranch_execnz .LBB2_389
	s_branch .LBB2_391
.LBB2_388:
	s_branch .LBB2_391
.LBB2_389:                              ; =>This Inner Loop Header: Depth=1
	v_mov_b32_e32 v0, 1
	s_and_saveexec_b64 s[14:15], s[4:5]
	s_cbranch_execz .LBB2_386
; %bb.390:                              ;   in Loop: Header=BB2_389 Depth=1
	global_load_dword v0, v[4:5], off offset:20 glc
	s_waitcnt vmcnt(0)
	buffer_wbinvl1_vol
	v_and_b32_e32 v0, 1, v0
	s_branch .LBB2_386
.LBB2_391:
	global_load_dwordx2 v[0:1], v[11:12], off
	s_and_saveexec_b64 s[14:15], s[4:5]
	s_cbranch_execz .LBB2_394
; %bb.392:
	v_mov_b32_e32 v6, 0
	global_load_dwordx2 v[2:3], v6, s[10:11] offset:40
	global_load_dwordx2 v[13:14], v6, s[10:11] offset:24 glc
	global_load_dwordx2 v[4:5], v6, s[10:11]
	s_waitcnt vmcnt(2)
	v_readfirstlane_b32 s16, v2
	v_readfirstlane_b32 s17, v3
	s_add_u32 s18, s16, 1
	s_addc_u32 s19, s17, 0
	s_add_u32 s4, s18, s12
	s_addc_u32 s5, s19, s13
	s_cmp_eq_u64 s[4:5], 0
	s_cselect_b32 s5, s19, s5
	s_cselect_b32 s4, s18, s4
	s_and_b64 s[12:13], s[4:5], s[16:17]
	s_mul_i32 s13, s13, 24
	s_mul_hi_u32 s16, s12, 24
	s_mul_i32 s12, s12, 24
	s_add_i32 s13, s16, s13
	v_mov_b32_e32 v2, s13
	s_waitcnt vmcnt(0)
	v_add_co_u32_e32 v9, vcc, s12, v4
	v_addc_co_u32_e32 v10, vcc, v5, v2, vcc
	v_mov_b32_e32 v11, s4
	global_store_dwordx2 v[9:10], v[13:14], off
	v_mov_b32_e32 v12, s5
	s_waitcnt vmcnt(0)
	global_atomic_cmpswap_x2 v[4:5], v6, v[11:14], s[10:11] offset:24 glc
	s_mov_b64 s[12:13], 0
	s_waitcnt vmcnt(0)
	v_cmp_ne_u64_e32 vcc, v[4:5], v[13:14]
	s_and_b64 exec, exec, vcc
	s_cbranch_execz .LBB2_394
.LBB2_393:                              ; =>This Inner Loop Header: Depth=1
	s_sleep 1
	global_store_dwordx2 v[9:10], v[4:5], off
	v_mov_b32_e32 v2, s4
	v_mov_b32_e32 v3, s5
	s_waitcnt vmcnt(0)
	global_atomic_cmpswap_x2 v[2:3], v6, v[2:5], s[10:11] offset:24 glc
	s_waitcnt vmcnt(0)
	v_cmp_eq_u64_e32 vcc, v[2:3], v[4:5]
	v_mov_b32_e32 v5, v3
	s_or_b64 s[12:13], vcc, s[12:13]
	v_mov_b32_e32 v4, v2
	s_andn2_b64 exec, exec, s[12:13]
	s_cbranch_execnz .LBB2_393
.LBB2_394:
	s_or_b64 exec, exec, s[14:15]
.LBB2_395:
	s_or_b64 exec, exec, s[6:7]
	v_mov_b32_e32 v2, v7
	s_mov_b64 s[4:5], 0
	v_mov_b32_e32 v3, v8
.LBB2_396:                              ; =>This Inner Loop Header: Depth=1
	global_load_ubyte v6, v[2:3], off
	v_add_co_u32_e32 v4, vcc, 1, v2
	v_addc_co_u32_e32 v5, vcc, 0, v3, vcc
	v_mov_b32_e32 v2, v4
	v_mov_b32_e32 v3, v5
	s_waitcnt vmcnt(0)
	v_cmp_eq_u16_e32 vcc, 0, v6
	s_or_b64 s[4:5], vcc, s[4:5]
	s_andn2_b64 exec, exec, s[4:5]
	s_cbranch_execnz .LBB2_396
; %bb.397:
	s_or_b64 exec, exec, s[4:5]
	v_sub_u32_e32 v4, v4, v7
	v_ashrrev_i32_e32 v5, 31, v4
	s_getpc_b64 s[4:5]
	s_add_u32 s4, s4, __ockl_fprintf_append_string_n@rel32@lo+4
	s_addc_u32 s5, s5, __ockl_fprintf_append_string_n@rel32@hi+12
	v_mov_b32_e32 v2, v7
	v_mov_b32_e32 v3, v8
	;; [unrolled: 1-line block ×3, first 2 shown]
	s_swappc_b64 s[30:31], s[4:5]
	s_trap 2
.Lfunc_end2:
	.size	__assert_fail, .Lfunc_end2-__assert_fail
                                        ; -- End function
	.set .L__assert_fail.num_vgpr, max(53, .L__ockl_fprintf_append_string_n.num_vgpr)
	.set .L__assert_fail.num_agpr, max(0, .L__ockl_fprintf_append_string_n.num_agpr)
	.set .L__assert_fail.numbered_sgpr, max(34, .L__ockl_fprintf_append_string_n.numbered_sgpr)
	.set .L__assert_fail.num_named_barrier, max(0, .L__ockl_fprintf_append_string_n.num_named_barrier)
	.set .L__assert_fail.private_seg_size, 64+max(.L__ockl_fprintf_append_string_n.private_seg_size)
	.set .L__assert_fail.uses_vcc, or(1, .L__ockl_fprintf_append_string_n.uses_vcc)
	.set .L__assert_fail.uses_flat_scratch, or(0, .L__ockl_fprintf_append_string_n.uses_flat_scratch)
	.set .L__assert_fail.has_dyn_sized_stack, or(0, .L__ockl_fprintf_append_string_n.has_dyn_sized_stack)
	.set .L__assert_fail.has_recursion, or(0, .L__ockl_fprintf_append_string_n.has_recursion)
	.set .L__assert_fail.has_indirect_call, or(0, .L__ockl_fprintf_append_string_n.has_indirect_call)
	.section	.AMDGPU.csdata,"",@progbits
; Function info:
; codeLenInByte = 14196
; TotalNumSgprs: 38
; NumVgprs: 53
; ScratchSize: 64
; MemoryBound: 0
	.section	.text._ZL29soft_max_f32_parallelize_colsPKfPfS1_S1_15soft_max_params,"axG",@progbits,_ZL29soft_max_f32_parallelize_colsPKfPfS1_S1_15soft_max_params,comdat
	.globl	_ZL29soft_max_f32_parallelize_colsPKfPfS1_S1_15soft_max_params ; -- Begin function _ZL29soft_max_f32_parallelize_colsPKfPfS1_S1_15soft_max_params
	.p2align	8
	.type	_ZL29soft_max_f32_parallelize_colsPKfPfS1_S1_15soft_max_params,@function
_ZL29soft_max_f32_parallelize_colsPKfPfS1_S1_15soft_max_params: ; @_ZL29soft_max_f32_parallelize_colsPKfPfS1_S1_15soft_max_params
; %bb.0:
	s_add_u32 flat_scratch_lo, s6, s9
	s_load_dwordx4 s[12:15], s[4:5], 0x50
	s_load_dwordx2 s[10:11], s[4:5], 0x60
	s_addc_u32 flat_scratch_hi, s7, 0
	s_add_u32 s0, s0, s9
	s_addc_u32 s1, s1, 0
	s_add_u32 s6, s4, 32
	s_waitcnt lgkmcnt(0)
	s_mul_i32 s9, s14, s13
	s_mul_hi_u32 s13, s14, s12
	s_addc_u32 s7, s5, 0
	s_add_i32 s9, s13, s9
	s_mul_i32 s13, s15, s12
	s_mul_i32 s12, s14, s12
	s_add_i32 s9, s9, s13
	s_mul_i32 s11, s12, s11
	s_mul_hi_u32 s13, s12, s10
	s_add_i32 s11, s13, s11
	s_mul_i32 s9, s9, s10
	s_add_i32 s35, s11, s9
	s_mul_i32 s34, s12, s10
	v_cmp_lt_i64_e64 s[10:11], s[34:35], 1
	s_mov_b32 s32, 0
	s_and_b64 vcc, exec, s[10:11]
	s_cbranch_vccnz .LBB3_126
; %bb.1:
	s_load_dwordx2 s[22:23], s[4:5], 0xa0
	s_add_u32 s9, s4, 0xa0
	s_addc_u32 s11, s5, 0
	v_mov_b32_e32 v13, 0
	s_load_dword s12, s[4:5], 0xa8
	s_waitcnt lgkmcnt(0)
	s_cmp_lt_u32 s8, s22
	s_cselect_b32 s10, 12, 18
	s_add_u32 s10, s9, s10
	s_addc_u32 s11, s11, 0
	global_load_ushort v7, v13, s[10:11]
	v_mbcnt_lo_u32_b32 v3, -1, 0
	v_or3_b32 v1, v1, v2, v0
	v_mbcnt_hi_u32_b32 v2, -1, v3
	v_cmp_eq_u32_e64 s[10:11], 0, v1
	v_and_b32_e32 v1, 0x60, v2
	v_xor_b32_e32 v3, 16, v2
	v_add_u32_e32 v1, 32, v1
	v_xor_b32_e32 v6, 8, v2
	v_cmp_lt_i32_e32 vcc, v3, v1
	v_xor_b32_e32 v8, 4, v2
	v_cndmask_b32_e32 v3, v2, v3, vcc
	v_cmp_lt_i32_e32 vcc, v6, v1
	s_load_dwordx8 s[36:43], s[4:5], 0x0
	s_load_dwordx2 s[44:45], s[6:7], 0x10
	v_xor_b32_e32 v9, 2, v2
	v_cndmask_b32_e32 v6, v2, v6, vcc
	v_cmp_lt_i32_e32 vcc, v8, v1
	v_xor_b32_e32 v10, 1, v2
	v_cndmask_b32_e32 v8, v2, v8, vcc
	v_cmp_lt_i32_e32 vcc, v9, v1
	v_cndmask_b32_e32 v9, v2, v9, vcc
	v_cmp_lt_i32_e32 vcc, v10, v1
	v_lshlrev_b32_e32 v4, 2, v0
	v_cndmask_b32_e32 v1, v2, v10, vcc
	v_lshlrev_b32_e32 v20, 2, v1
	s_waitcnt lgkmcnt(0)
	v_mov_b32_e32 v2, s41
	v_add_co_u32_e32 v1, vcc, s40, v4
	v_addc_co_u32_e32 v2, vcc, 0, v2, vcc
	v_lshlrev_b32_e32 v16, 2, v3
	v_lshlrev_b32_e32 v17, 2, v6
	v_mov_b32_e32 v6, s43
	v_add_co_u32_e32 v3, vcc, s42, v4
	s_movk_i32 s16, 0x401
	v_addc_co_u32_e32 v4, vcc, 0, v6, vcc
	s_mov_b32 s9, 0
	s_mul_i32 s14, s23, s12
	s_mul_i32 s33, s14, s22
	;; [unrolled: 1-line block ×3, first 2 shown]
	v_and_b32_e32 v5, 31, v0
	v_lshlrev_b32_e32 v18, 2, v8
	v_cmp_gt_u32_e64 s[12:13], s22, v0
	v_cmp_eq_u32_e64 s[24:25], 0, v5
	v_lshlrev_b32_e32 v15, 2, v5
	v_lshrrev_b32_e32 v14, 3, v0
	v_cmp_eq_u32_e64 s[6:7], 0, v0
	s_mov_b64 s[46:47], 0
	v_lshlrev_b32_e32 v19, 2, v9
	s_mov_b32 s64, 0x3fb8aa3b
	s_mov_b32 s65, 0xc2ce8ed0
	;; [unrolled: 1-line block ×3, first 2 shown]
	v_mov_b32_e32 v27, 0x7f800000
	s_mov_b32 m0, 0
	s_waitcnt vmcnt(0)
	v_readfirstlane_b32 s18, v7
	s_and_b32 s20, s18, 31
	s_cmp_eq_u32 s20, 0
	v_cmp_gt_u32_e32 vcc, s16, v7
	s_cselect_b64 s[48:49], -1, 0
	s_lshl_b64 s[26:27], s[8:9], 2
	s_and_b64 s[50:51], vcc, s[48:49]
	s_add_u32 s40, s40, s26
	v_mul_lo_u32 v21, s8, v7
	s_addc_u32 s41, s41, s27
	s_add_i32 s33, s33, -1
	s_add_u32 s42, s42, s26
	s_addc_u32 s43, s43, s27
	s_lshl_b32 s9, s22, 1
	s_lshl_b32 s26, s22, 2
	v_lshrrev_b32_e32 v6, 5, v7
	v_cmp_lt_u32_e64 s[16:17], s22, v7
	v_mul_lo_u32 v8, s22, v7
	s_add_i32 s23, s8, s23
	s_add_i32 s22, s8, s22
	;; [unrolled: 1-line block ×4, first 2 shown]
	v_cmp_lt_u32_e64 s[18:19], v5, v6
	v_add_u32_e32 v5, v21, v0
	v_mul_lo_u32 v23, s23, v7
	v_mul_lo_u32 v24, s22, v7
	;; [unrolled: 1-line block ×4, first 2 shown]
	v_ashrrev_i32_e32 v6, 31, v5
	v_cmp_gt_i64_e64 s[20:21], s[44:45], v[5:6]
	v_cmp_lt_u32_e64 s[14:15], 32, v7
	v_lshlrev_b32_e32 v22, 2, v8
	s_branch .LBB3_5
.LBB3_2:                                ;   in Loop: Header=BB3_5 Depth=1
	s_mov_b64 s[30:31], 0
.LBB3_3:                                ;   in Loop: Header=BB3_5 Depth=1
                                        ; implicit-def: $sgpr46_sgpr47
.LBB3_4:                                ;   in Loop: Header=BB3_5 Depth=1
	s_and_b64 vcc, exec, s[26:27]
	s_cbranch_vccnz .LBB3_106
.LBB3_5:                                ; =>This Loop Header: Depth=1
                                        ;     Child Loop BB3_8 Depth 2
                                        ;     Child Loop BB3_45 Depth 2
	;; [unrolled: 1-line block ×3, first 2 shown]
	s_mul_i32 s8, s46, s45
	s_mul_hi_u32 s9, s46, s44
	s_add_i32 s8, s9, s8
	s_mul_i32 s9, s47, s44
	s_add_i32 s9, s8, s9
	s_mul_i32 s8, s46, s44
	s_lshl_b64 s[8:9], s[8:9], 2
	s_add_u32 s69, s36, s8
	s_addc_u32 s70, s37, s9
	v_mov_b32_e32 v7, 0xff800000
	s_and_saveexec_b64 s[22:23], s[20:21]
	s_cbranch_execz .LBB3_17
; %bb.6:                                ;   in Loop: Header=BB3_5 Depth=1
	v_mov_b32_e32 v7, 0xff800000
	s_mov_b64 s[26:27], 0
	v_mov_b32_e32 v8, v0
	s_branch .LBB3_8
.LBB3_7:                                ;   in Loop: Header=BB3_8 Depth=2
	s_or_b64 exec, exec, s[28:29]
	v_add_u32_e32 v5, v26, v8
	v_ashrrev_i32_e32 v6, 31, v5
	v_cmp_le_i64_e32 vcc, s[44:45], v[5:6]
	s_waitcnt vmcnt(0)
	v_max3_f32 v7, v7, v9, v11
	v_max3_f32 v7, v7, v10, v12
	s_or_b64 s[26:27], vcc, s[26:27]
	v_add_u32_e32 v8, v8, v22
	s_andn2_b64 exec, exec, s[26:27]
	s_cbranch_execz .LBB3_16
.LBB3_8:                                ;   Parent Loop BB3_5 Depth=1
                                        ; =>  This Inner Loop Header: Depth=2
	v_add_u32_e32 v5, v21, v8
	v_ashrrev_i32_e32 v6, 31, v5
	v_cmp_gt_i64_e32 vcc, s[44:45], v[5:6]
	v_mov_b32_e32 v9, 0xff800000
	s_and_saveexec_b64 s[28:29], vcc
	s_cbranch_execz .LBB3_10
; %bb.9:                                ;   in Loop: Header=BB3_8 Depth=2
	v_lshlrev_b64 v[5:6], 2, v[5:6]
	v_mov_b32_e32 v9, s70
	v_add_co_u32_e32 v5, vcc, s69, v5
	v_addc_co_u32_e32 v6, vcc, v9, v6, vcc
	global_load_dword v9, v[5:6], off
.LBB3_10:                               ;   in Loop: Header=BB3_8 Depth=2
	s_or_b64 exec, exec, s[28:29]
	v_add_u32_e32 v5, v24, v8
	v_ashrrev_i32_e32 v6, 31, v5
	v_cmp_gt_i64_e32 vcc, s[44:45], v[5:6]
	v_mov_b32_e32 v10, 0xff800000
	v_mov_b32_e32 v11, 0xff800000
	s_and_saveexec_b64 s[28:29], vcc
	s_cbranch_execz .LBB3_12
; %bb.11:                               ;   in Loop: Header=BB3_8 Depth=2
	v_lshlrev_b64 v[5:6], 2, v[5:6]
	v_mov_b32_e32 v11, s70
	v_add_co_u32_e32 v5, vcc, s69, v5
	v_addc_co_u32_e32 v6, vcc, v11, v6, vcc
	global_load_dword v11, v[5:6], off
.LBB3_12:                               ;   in Loop: Header=BB3_8 Depth=2
	s_or_b64 exec, exec, s[28:29]
	v_add_u32_e32 v5, v25, v8
	v_ashrrev_i32_e32 v6, 31, v5
	v_cmp_gt_i64_e32 vcc, s[44:45], v[5:6]
	s_and_saveexec_b64 s[28:29], vcc
	s_cbranch_execz .LBB3_14
; %bb.13:                               ;   in Loop: Header=BB3_8 Depth=2
	v_lshlrev_b64 v[5:6], 2, v[5:6]
	v_mov_b32_e32 v10, s70
	v_add_co_u32_e32 v5, vcc, s69, v5
	v_addc_co_u32_e32 v6, vcc, v10, v6, vcc
	global_load_dword v10, v[5:6], off
.LBB3_14:                               ;   in Loop: Header=BB3_8 Depth=2
	s_or_b64 exec, exec, s[28:29]
	v_add_u32_e32 v5, v23, v8
	v_ashrrev_i32_e32 v6, 31, v5
	v_cmp_gt_i64_e32 vcc, s[44:45], v[5:6]
	v_mov_b32_e32 v12, 0xff800000
	s_and_saveexec_b64 s[28:29], vcc
	s_cbranch_execz .LBB3_7
; %bb.15:                               ;   in Loop: Header=BB3_8 Depth=2
	v_lshlrev_b64 v[5:6], 2, v[5:6]
	v_mov_b32_e32 v12, s70
	v_add_co_u32_e32 v5, vcc, s69, v5
	v_addc_co_u32_e32 v6, vcc, v12, v6, vcc
	global_load_dword v12, v[5:6], off
	s_branch .LBB3_7
.LBB3_16:                               ;   in Loop: Header=BB3_5 Depth=1
	s_or_b64 exec, exec, s[26:27]
.LBB3_17:                               ;   in Loop: Header=BB3_5 Depth=1
	s_or_b64 exec, exec, s[22:23]
	ds_bpermute_b32 v5, v16, v7
	v_max_f32_e32 v6, v7, v7
	v_cndmask_b32_e64 v7, 0, 1, s[14:15]
	v_cmp_ne_u32_e64 s[22:23], 1, v7
	s_andn2_b64 vcc, exec, s[14:15]
	s_waitcnt lgkmcnt(0)
	v_max_f32_e32 v5, v5, v5
	v_max_f32_e32 v5, v6, v5
	ds_bpermute_b32 v6, v17, v5
	s_mov_b64 s[52:53], -1
	s_waitcnt lgkmcnt(0)
	v_max_f32_e32 v6, v6, v6
	v_max_f32_e32 v5, v5, v6
	ds_bpermute_b32 v6, v18, v5
	s_waitcnt lgkmcnt(0)
	v_max_f32_e32 v6, v6, v6
	v_max_f32_e32 v5, v5, v6
	ds_bpermute_b32 v6, v19, v5
	;; [unrolled: 4-line block ×3, first 2 shown]
	s_waitcnt lgkmcnt(0)
	v_max_f32_e32 v6, v6, v6
	v_max_f32_e32 v5, v5, v6
	s_cbranch_vccnz .LBB3_24
; %bb.18:                               ;   in Loop: Header=BB3_5 Depth=1
	s_mov_b64 s[26:27], 0
	s_and_b64 vcc, exec, s[50:51]
	s_cbranch_vccz .LBB3_25
; %bb.19:                               ;   in Loop: Header=BB3_5 Depth=1
	s_and_saveexec_b64 s[26:27], s[24:25]
; %bb.20:                               ;   in Loop: Header=BB3_5 Depth=1
	ds_write_b32 v14, v5
; %bb.21:                               ;   in Loop: Header=BB3_5 Depth=1
	s_or_b64 exec, exec, s[26:27]
	v_mov_b32_e32 v5, 0xff800000
	s_waitcnt vmcnt(0) lgkmcnt(0)
	s_barrier
	s_and_saveexec_b64 s[26:27], s[18:19]
; %bb.22:                               ;   in Loop: Header=BB3_5 Depth=1
	ds_read_b32 v5, v15
; %bb.23:                               ;   in Loop: Header=BB3_5 Depth=1
	s_or_b64 exec, exec, s[26:27]
	s_waitcnt lgkmcnt(0)
	ds_bpermute_b32 v6, v16, v5
	v_max_f32_e32 v5, v5, v5
	s_waitcnt lgkmcnt(0)
	v_max_f32_e32 v6, v6, v6
	v_max_f32_e32 v5, v5, v6
	ds_bpermute_b32 v6, v17, v5
	s_waitcnt lgkmcnt(0)
	v_max_f32_e32 v6, v6, v6
	v_max_f32_e32 v5, v5, v6
	ds_bpermute_b32 v6, v18, v5
	;; [unrolled: 4-line block ×4, first 2 shown]
	s_waitcnt lgkmcnt(0)
	v_max_f32_e32 v6, v6, v6
	v_max_f32_e32 v5, v5, v6
.LBB3_24:                               ;   in Loop: Header=BB3_5 Depth=1
	s_mov_b64 s[26:27], -1
.LBB3_25:                               ;   in Loop: Header=BB3_5 Depth=1
	s_mov_b64 s[28:29], 0
	s_and_b64 vcc, exec, s[26:27]
	s_mov_b64 s[30:31], 0
	s_mov_b64 s[56:57], 0
	;; [unrolled: 1-line block ×3, first 2 shown]
	s_mov_b64 s[26:27], -1
	s_cbranch_vccz .LBB3_4
; %bb.26:                               ;   in Loop: Header=BB3_5 Depth=1
	s_and_saveexec_b64 s[26:27], s[6:7]
	s_cbranch_execz .LBB3_28
; %bb.27:                               ;   in Loop: Header=BB3_5 Depth=1
	global_store_dword v13, v5, s[40:41]
.LBB3_28:                               ;   in Loop: Header=BB3_5 Depth=1
	s_or_b64 exec, exec, s[26:27]
	s_waitcnt vmcnt(0)
	s_barrier
	s_and_saveexec_b64 s[26:27], s[10:11]
	s_cbranch_execz .LBB3_30
; %bb.29:                               ;   in Loop: Header=BB3_5 Depth=1
	v_mov_b32_e32 v5, s33
	ds_gws_barrier v5 gds
	s_waitcnt vmcnt(0) expcnt(0) lgkmcnt(0)
	buffer_wbinvl1_vol
.LBB3_30:                               ;   in Loop: Header=BB3_5 Depth=1
	s_or_b64 exec, exec, s[26:27]
	s_mov_b64 s[54:55], -1
	s_mov_b64 s[52:53], 0
	s_and_b64 vcc, exec, s[16:17]
	s_mov_b64 s[26:27], -1
	s_barrier
	s_cbranch_vccz .LBB3_4
; %bb.31:                               ;   in Loop: Header=BB3_5 Depth=1
	v_mov_b32_e32 v5, 0xff800000
	s_and_saveexec_b64 s[26:27], s[12:13]
	s_cbranch_execz .LBB3_33
; %bb.32:                               ;   in Loop: Header=BB3_5 Depth=1
	global_load_dword v5, v[1:2], off
.LBB3_33:                               ;   in Loop: Header=BB3_5 Depth=1
	s_or_b64 exec, exec, s[26:27]
	s_waitcnt vmcnt(0)
	ds_bpermute_b32 v6, v16, v5
	v_max_f32_e32 v5, v5, v5
	s_mov_b64 s[26:27], -1
	s_and_b64 vcc, exec, s[22:23]
	s_waitcnt lgkmcnt(0)
	v_max_f32_e32 v6, v6, v6
	v_max_f32_e32 v5, v5, v6
	ds_bpermute_b32 v6, v17, v5
	s_waitcnt lgkmcnt(0)
	v_max_f32_e32 v6, v6, v6
	v_max_f32_e32 v5, v5, v6
	ds_bpermute_b32 v6, v18, v5
	;; [unrolled: 4-line block ×4, first 2 shown]
	s_waitcnt lgkmcnt(0)
	v_max_f32_e32 v6, v6, v6
	v_max_f32_e32 v28, v5, v6
	s_cbranch_vccnz .LBB3_36
; %bb.34:                               ;   in Loop: Header=BB3_5 Depth=1
	s_mov_b64 s[54:55], 0
	s_and_b64 vcc, exec, s[48:49]
	s_cbranch_vccnz .LBB3_37
; %bb.35:                               ;   in Loop: Header=BB3_5 Depth=1
	s_mov_b64 s[56:57], -1
	s_and_b64 vcc, exec, s[30:31]
	s_cbranch_vccz .LBB3_2
	s_branch .LBB3_42
.LBB3_36:                               ;   in Loop: Header=BB3_5 Depth=1
	s_cbranch_execnz .LBB3_42
	s_branch .LBB3_2
.LBB3_37:                               ;   in Loop: Header=BB3_5 Depth=1
	s_and_saveexec_b64 s[30:31], s[24:25]
; %bb.38:                               ;   in Loop: Header=BB3_5 Depth=1
	ds_write_b32 v14, v28
; %bb.39:                               ;   in Loop: Header=BB3_5 Depth=1
	s_or_b64 exec, exec, s[30:31]
	v_mov_b32_e32 v5, 0xff800000
	s_waitcnt lgkmcnt(0)
	s_barrier
	s_and_saveexec_b64 s[30:31], s[18:19]
; %bb.40:                               ;   in Loop: Header=BB3_5 Depth=1
	ds_read_b32 v5, v15
; %bb.41:                               ;   in Loop: Header=BB3_5 Depth=1
	s_or_b64 exec, exec, s[30:31]
	s_waitcnt lgkmcnt(0)
	ds_bpermute_b32 v6, v16, v5
	v_max_f32_e32 v5, v5, v5
	s_mov_b64 s[56:57], -1
	s_waitcnt lgkmcnt(0)
	v_max_f32_e32 v6, v6, v6
	v_max_f32_e32 v5, v5, v6
	ds_bpermute_b32 v6, v17, v5
	s_waitcnt lgkmcnt(0)
	v_max_f32_e32 v6, v6, v6
	v_max_f32_e32 v5, v5, v6
	ds_bpermute_b32 v6, v18, v5
	;; [unrolled: 4-line block ×4, first 2 shown]
	s_waitcnt lgkmcnt(0)
	v_max_f32_e32 v6, v6, v6
	v_max_f32_e32 v28, v5, v6
	s_cbranch_execz .LBB3_2
.LBB3_42:                               ;   in Loop: Header=BB3_5 Depth=1
	s_add_u32 s67, s38, s8
	s_addc_u32 s68, s39, s9
	v_mov_b32_e32 v29, 0
	s_and_saveexec_b64 s[58:59], s[20:21]
	s_cbranch_execz .LBB3_62
; %bb.43:                               ;   in Loop: Header=BB3_5 Depth=1
	v_mov_b32_e32 v29, 0
	s_mov_b64 s[60:61], 0
	v_mov_b32_e32 v30, v0
	s_branch .LBB3_45
.LBB3_44:                               ;   in Loop: Header=BB3_45 Depth=2
	s_or_b64 exec, exec, s[8:9]
	v_add_u32_e32 v5, v26, v30
	v_ashrrev_i32_e32 v6, 31, v5
	v_cmp_le_i64_e32 vcc, s[44:45], v[5:6]
	v_add_u32_e32 v30, v30, v22
	s_or_b64 s[60:61], vcc, s[60:61]
	s_andn2_b64 exec, exec, s[60:61]
	s_cbranch_execz .LBB3_61
.LBB3_45:                               ;   Parent Loop BB3_5 Depth=1
                                        ; =>  This Inner Loop Header: Depth=2
	v_add_u32_e32 v5, v21, v30
	v_ashrrev_i32_e32 v6, 31, v5
	v_cmp_gt_i64_e64 s[28:29], s[44:45], v[5:6]
	v_lshlrev_b64 v[11:12], 2, v[5:6]
	s_waitcnt vmcnt(0)
	v_mov_b32_e32 v32, 0xff800000
	v_mov_b32_e32 v34, 0xff800000
	s_and_saveexec_b64 s[8:9], s[28:29]
	s_cbranch_execz .LBB3_47
; %bb.46:                               ;   in Loop: Header=BB3_45 Depth=2
	v_mov_b32_e32 v6, s70
	v_add_co_u32_e32 v5, vcc, s69, v11
	v_addc_co_u32_e32 v6, vcc, v6, v12, vcc
	global_load_dword v34, v[5:6], off
.LBB3_47:                               ;   in Loop: Header=BB3_45 Depth=2
	s_or_b64 exec, exec, s[8:9]
	v_add_u32_e32 v5, v24, v30
	v_ashrrev_i32_e32 v6, 31, v5
	v_cmp_gt_i64_e64 s[26:27], s[44:45], v[5:6]
	v_lshlrev_b64 v[9:10], 2, v[5:6]
	s_and_saveexec_b64 s[8:9], s[26:27]
	s_cbranch_execz .LBB3_49
; %bb.48:                               ;   in Loop: Header=BB3_45 Depth=2
	v_mov_b32_e32 v6, s70
	v_add_co_u32_e32 v5, vcc, s69, v9
	v_addc_co_u32_e32 v6, vcc, v6, v10, vcc
	global_load_dword v32, v[5:6], off
.LBB3_49:                               ;   in Loop: Header=BB3_45 Depth=2
	s_or_b64 exec, exec, s[8:9]
	v_add_u32_e32 v5, v25, v30
	v_ashrrev_i32_e32 v6, 31, v5
	v_cmp_gt_i64_e64 s[8:9], s[44:45], v[5:6]
	v_lshlrev_b64 v[7:8], 2, v[5:6]
	v_mov_b32_e32 v31, 0xff800000
	v_mov_b32_e32 v33, 0xff800000
	s_and_saveexec_b64 s[30:31], s[8:9]
	s_cbranch_execz .LBB3_51
; %bb.50:                               ;   in Loop: Header=BB3_45 Depth=2
	v_mov_b32_e32 v6, s70
	v_add_co_u32_e32 v5, vcc, s69, v7
	v_addc_co_u32_e32 v6, vcc, v6, v8, vcc
	global_load_dword v33, v[5:6], off
.LBB3_51:                               ;   in Loop: Header=BB3_45 Depth=2
	s_or_b64 exec, exec, s[30:31]
	v_add_u32_e32 v5, v23, v30
	v_ashrrev_i32_e32 v6, 31, v5
	v_cmp_gt_i64_e32 vcc, s[44:45], v[5:6]
	v_lshlrev_b64 v[5:6], 2, v[5:6]
	s_and_saveexec_b64 s[62:63], vcc
	s_cbranch_execz .LBB3_56
; %bb.52:                               ;   in Loop: Header=BB3_45 Depth=2
	v_mov_b32_e32 v31, s70
	v_add_co_u32_e64 v35, s[30:31], s69, v5
	v_addc_co_u32_e64 v36, s[30:31], v31, v6, s[30:31]
	global_load_dword v31, v[35:36], off
	s_or_b64 exec, exec, s[62:63]
	s_and_saveexec_b64 s[30:31], s[28:29]
	s_cbranch_execnz .LBB3_57
.LBB3_53:                               ;   in Loop: Header=BB3_45 Depth=2
	s_or_b64 exec, exec, s[30:31]
	s_and_saveexec_b64 s[28:29], s[26:27]
	s_cbranch_execz .LBB3_58
.LBB3_54:                               ;   in Loop: Header=BB3_45 Depth=2
	s_waitcnt vmcnt(0)
	v_sub_f32_e32 v12, v32, v28
	v_mul_f32_e32 v32, 0x3fb8aa3b, v12
	v_fma_f32 v34, v12, s64, -v32
	v_rndne_f32_e32 v35, v32
	v_fmac_f32_e32 v34, 0x32a5705f, v12
	v_sub_f32_e32 v32, v32, v35
	v_add_f32_e32 v32, v32, v34
	v_exp_f32_e32 v32, v32
	v_cvt_i32_f32_e32 v34, v35
	v_mov_b32_e32 v11, s68
	v_add_co_u32_e64 v9, s[26:27], s67, v9
	v_addc_co_u32_e64 v10, s[26:27], v11, v10, s[26:27]
	v_ldexp_f32 v11, v32, v34
	v_cmp_ngt_f32_e64 s[26:27], s65, v12
	v_cndmask_b32_e64 v11, 0, v11, s[26:27]
	v_cmp_nlt_f32_e64 s[26:27], s66, v12
	v_cndmask_b32_e64 v11, v27, v11, s[26:27]
	v_add_f32_e32 v29, v11, v29
	global_store_dword v[9:10], v11, off
	s_or_b64 exec, exec, s[28:29]
	s_and_saveexec_b64 s[26:27], s[8:9]
	s_cbranch_execnz .LBB3_59
.LBB3_55:                               ;   in Loop: Header=BB3_45 Depth=2
	s_or_b64 exec, exec, s[26:27]
	s_and_saveexec_b64 s[8:9], vcc
	s_cbranch_execz .LBB3_44
	s_branch .LBB3_60
.LBB3_56:                               ;   in Loop: Header=BB3_45 Depth=2
	s_or_b64 exec, exec, s[62:63]
	s_and_saveexec_b64 s[30:31], s[28:29]
	s_cbranch_execz .LBB3_53
.LBB3_57:                               ;   in Loop: Header=BB3_45 Depth=2
	s_waitcnt vmcnt(0)
	v_sub_f32_e32 v34, v34, v28
	v_mul_f32_e32 v36, 0x3fb8aa3b, v34
	v_fma_f32 v37, v34, s64, -v36
	v_rndne_f32_e32 v38, v36
	v_fmac_f32_e32 v37, 0x32a5705f, v34
	v_sub_f32_e32 v36, v36, v38
	v_add_f32_e32 v36, v36, v37
	v_exp_f32_e32 v36, v36
	v_cvt_i32_f32_e32 v37, v38
	v_mov_b32_e32 v35, s68
	v_add_co_u32_e64 v11, s[28:29], s67, v11
	v_addc_co_u32_e64 v12, s[28:29], v35, v12, s[28:29]
	v_ldexp_f32 v35, v36, v37
	v_cmp_ngt_f32_e64 s[28:29], s65, v34
	v_cndmask_b32_e64 v35, 0, v35, s[28:29]
	v_cmp_nlt_f32_e64 s[28:29], s66, v34
	v_cndmask_b32_e64 v34, v27, v35, s[28:29]
	v_add_f32_e32 v29, v29, v34
	global_store_dword v[11:12], v34, off
	s_or_b64 exec, exec, s[30:31]
	s_and_saveexec_b64 s[28:29], s[26:27]
	s_cbranch_execnz .LBB3_54
.LBB3_58:                               ;   in Loop: Header=BB3_45 Depth=2
	s_or_b64 exec, exec, s[28:29]
	s_and_saveexec_b64 s[26:27], s[8:9]
	s_cbranch_execz .LBB3_55
.LBB3_59:                               ;   in Loop: Header=BB3_45 Depth=2
	s_waitcnt vmcnt(0)
	v_sub_f32_e32 v10, v33, v28
	v_mul_f32_e32 v11, 0x3fb8aa3b, v10
	v_fma_f32 v12, v10, s64, -v11
	v_rndne_f32_e32 v32, v11
	v_fmac_f32_e32 v12, 0x32a5705f, v10
	v_sub_f32_e32 v11, v11, v32
	v_add_f32_e32 v11, v11, v12
	v_exp_f32_e32 v11, v11
	v_cvt_i32_f32_e32 v12, v32
	v_mov_b32_e32 v9, s68
	v_add_co_u32_e64 v7, s[8:9], s67, v7
	v_addc_co_u32_e64 v8, s[8:9], v9, v8, s[8:9]
	v_ldexp_f32 v9, v11, v12
	v_cmp_ngt_f32_e64 s[8:9], s65, v10
	v_cndmask_b32_e64 v9, 0, v9, s[8:9]
	v_cmp_nlt_f32_e64 s[8:9], s66, v10
	v_cndmask_b32_e64 v9, v27, v9, s[8:9]
	v_add_f32_e32 v29, v9, v29
	global_store_dword v[7:8], v9, off
	s_or_b64 exec, exec, s[26:27]
	s_and_saveexec_b64 s[8:9], vcc
	s_cbranch_execz .LBB3_44
.LBB3_60:                               ;   in Loop: Header=BB3_45 Depth=2
	s_waitcnt vmcnt(0)
	v_sub_f32_e32 v8, v31, v28
	v_mul_f32_e32 v9, 0x3fb8aa3b, v8
	v_fma_f32 v10, v8, s64, -v9
	v_rndne_f32_e32 v11, v9
	v_fmac_f32_e32 v10, 0x32a5705f, v8
	v_sub_f32_e32 v9, v9, v11
	v_add_f32_e32 v9, v9, v10
	v_exp_f32_e32 v9, v9
	v_cvt_i32_f32_e32 v10, v11
	v_mov_b32_e32 v7, s68
	v_add_co_u32_e32 v5, vcc, s67, v5
	v_addc_co_u32_e32 v6, vcc, v7, v6, vcc
	v_ldexp_f32 v7, v9, v10
	v_cmp_ngt_f32_e32 vcc, s65, v8
	v_cndmask_b32_e32 v7, 0, v7, vcc
	v_cmp_nlt_f32_e32 vcc, s66, v8
	v_cndmask_b32_e32 v7, v27, v7, vcc
	v_add_f32_e32 v29, v7, v29
	global_store_dword v[5:6], v7, off
	s_branch .LBB3_44
.LBB3_61:                               ;   in Loop: Header=BB3_5 Depth=1
	s_or_b64 exec, exec, s[60:61]
.LBB3_62:                               ;   in Loop: Header=BB3_5 Depth=1
	s_or_b64 exec, exec, s[58:59]
	ds_bpermute_b32 v5, v16, v29
	s_mov_b64 s[26:27], -1
	s_and_b64 vcc, exec, s[22:23]
	s_mov_b64 s[28:29], 0
	s_waitcnt lgkmcnt(0)
	v_add_f32_e32 v5, v29, v5
	ds_bpermute_b32 v6, v17, v5
	s_waitcnt lgkmcnt(0)
	v_add_f32_e32 v5, v5, v6
	ds_bpermute_b32 v6, v18, v5
	;; [unrolled: 3-line block ×4, first 2 shown]
	s_waitcnt lgkmcnt(0)
	v_add_f32_e32 v5, v5, v6
	s_cbranch_vccnz .LBB3_70
; %bb.63:                               ;   in Loop: Header=BB3_5 Depth=1
	s_mov_b64 s[56:57], 0
	s_and_b64 vcc, exec, s[50:51]
	s_mov_b64 s[8:9], 0
	s_cbranch_vccz .LBB3_69
; %bb.64:                               ;   in Loop: Header=BB3_5 Depth=1
	s_and_saveexec_b64 s[8:9], s[24:25]
; %bb.65:                               ;   in Loop: Header=BB3_5 Depth=1
	ds_write_b32 v14, v5
; %bb.66:                               ;   in Loop: Header=BB3_5 Depth=1
	s_or_b64 exec, exec, s[8:9]
	v_mov_b32_e32 v5, 0
	s_waitcnt vmcnt(0) lgkmcnt(0)
	s_barrier
	s_and_saveexec_b64 s[8:9], s[18:19]
; %bb.67:                               ;   in Loop: Header=BB3_5 Depth=1
	ds_read_b32 v5, v15
; %bb.68:                               ;   in Loop: Header=BB3_5 Depth=1
	s_or_b64 exec, exec, s[8:9]
	s_waitcnt lgkmcnt(0)
	ds_bpermute_b32 v6, v16, v5
	s_mov_b64 s[8:9], -1
	s_waitcnt lgkmcnt(0)
	v_add_f32_e32 v5, v5, v6
	ds_bpermute_b32 v6, v17, v5
	s_waitcnt lgkmcnt(0)
	v_add_f32_e32 v5, v5, v6
	ds_bpermute_b32 v6, v18, v5
	;; [unrolled: 3-line block ×4, first 2 shown]
	s_waitcnt lgkmcnt(0)
	v_add_f32_e32 v5, v5, v6
.LBB3_69:                               ;   in Loop: Header=BB3_5 Depth=1
	s_mov_b64 s[30:31], -1
	s_mov_b64 s[54:55], 0
	s_and_b64 vcc, exec, s[8:9]
	s_cbranch_vccz .LBB3_3
	s_branch .LBB3_71
.LBB3_70:                               ;   in Loop: Header=BB3_5 Depth=1
	s_mov_b64 s[30:31], 0
	s_cbranch_execz .LBB3_3
.LBB3_71:                               ;   in Loop: Header=BB3_5 Depth=1
	s_and_saveexec_b64 s[8:9], s[6:7]
	s_cbranch_execz .LBB3_73
; %bb.72:                               ;   in Loop: Header=BB3_5 Depth=1
	global_store_dword v13, v5, s[42:43]
.LBB3_73:                               ;   in Loop: Header=BB3_5 Depth=1
	s_or_b64 exec, exec, s[8:9]
	s_waitcnt vmcnt(0)
	s_barrier
	s_and_saveexec_b64 s[8:9], s[10:11]
	s_cbranch_execz .LBB3_75
; %bb.74:                               ;   in Loop: Header=BB3_5 Depth=1
	v_mov_b32_e32 v5, s33
	ds_gws_barrier v5 gds
	s_waitcnt vmcnt(0) expcnt(0) lgkmcnt(0)
	buffer_wbinvl1_vol
.LBB3_75:                               ;   in Loop: Header=BB3_5 Depth=1
	s_or_b64 exec, exec, s[8:9]
	v_mov_b32_e32 v5, 0
	s_barrier
	s_and_saveexec_b64 s[8:9], s[12:13]
	s_cbranch_execz .LBB3_77
; %bb.76:                               ;   in Loop: Header=BB3_5 Depth=1
	global_load_dword v5, v[3:4], off
.LBB3_77:                               ;   in Loop: Header=BB3_5 Depth=1
	s_or_b64 exec, exec, s[8:9]
	s_waitcnt vmcnt(0)
	ds_bpermute_b32 v6, v16, v5
	s_and_b64 vcc, exec, s[22:23]
	s_waitcnt lgkmcnt(0)
	v_add_f32_e32 v5, v5, v6
	ds_bpermute_b32 v6, v17, v5
	s_waitcnt lgkmcnt(0)
	v_add_f32_e32 v5, v5, v6
	ds_bpermute_b32 v6, v18, v5
	;; [unrolled: 3-line block ×4, first 2 shown]
	s_waitcnt lgkmcnt(0)
	v_add_f32_e32 v28, v5, v6
	s_cbranch_vccnz .LBB3_85
; %bb.78:                               ;   in Loop: Header=BB3_5 Depth=1
	s_mov_b64 s[30:31], 0
	s_and_b64 vcc, exec, s[48:49]
	s_mov_b64 s[8:9], 0
	s_cbranch_vccz .LBB3_84
; %bb.79:                               ;   in Loop: Header=BB3_5 Depth=1
	s_and_saveexec_b64 s[8:9], s[24:25]
; %bb.80:                               ;   in Loop: Header=BB3_5 Depth=1
	ds_write_b32 v14, v28
; %bb.81:                               ;   in Loop: Header=BB3_5 Depth=1
	s_or_b64 exec, exec, s[8:9]
	v_mov_b32_e32 v5, 0
	s_waitcnt lgkmcnt(0)
	s_barrier
	s_and_saveexec_b64 s[8:9], s[18:19]
; %bb.82:                               ;   in Loop: Header=BB3_5 Depth=1
	ds_read_b32 v5, v15
; %bb.83:                               ;   in Loop: Header=BB3_5 Depth=1
	s_or_b64 exec, exec, s[8:9]
	s_waitcnt lgkmcnt(0)
	ds_bpermute_b32 v6, v16, v5
	s_mov_b64 s[8:9], -1
	s_waitcnt lgkmcnt(0)
	v_add_f32_e32 v5, v5, v6
	ds_bpermute_b32 v6, v17, v5
	s_waitcnt lgkmcnt(0)
	v_add_f32_e32 v5, v5, v6
	ds_bpermute_b32 v6, v18, v5
	s_waitcnt lgkmcnt(0)
	v_add_f32_e32 v5, v5, v6
	ds_bpermute_b32 v6, v19, v5
	s_waitcnt lgkmcnt(0)
	v_add_f32_e32 v5, v5, v6
	ds_bpermute_b32 v6, v20, v5
	s_waitcnt lgkmcnt(0)
	v_add_f32_e32 v28, v5, v6
.LBB3_84:                               ;   in Loop: Header=BB3_5 Depth=1
	s_mov_b64 s[28:29], -1
	s_mov_b64 s[56:57], 0
	s_mov_b64 s[54:55], 0
	s_and_b64 vcc, exec, s[8:9]
	s_cbranch_vccz .LBB3_4
	s_branch .LBB3_86
.LBB3_85:                               ;   in Loop: Header=BB3_5 Depth=1
	s_cbranch_execz .LBB3_4
.LBB3_86:                               ;   in Loop: Header=BB3_5 Depth=1
	s_and_saveexec_b64 s[30:31], s[20:21]
	s_cbranch_execz .LBB3_105
; %bb.87:                               ;   in Loop: Header=BB3_5 Depth=1
	s_mov_b64 s[54:55], 0
	v_mov_b32_e32 v29, v0
	s_branch .LBB3_89
.LBB3_88:                               ;   in Loop: Header=BB3_89 Depth=2
	s_or_b64 exec, exec, s[22:23]
	v_add_u32_e32 v5, v26, v29
	v_ashrrev_i32_e32 v6, 31, v5
	v_cmp_le_i64_e32 vcc, s[44:45], v[5:6]
	v_add_u32_e32 v29, v29, v22
	s_or_b64 s[54:55], vcc, s[54:55]
	s_andn2_b64 exec, exec, s[54:55]
	s_cbranch_execz .LBB3_105
.LBB3_89:                               ;   Parent Loop BB3_5 Depth=1
                                        ; =>  This Inner Loop Header: Depth=2
	v_add_u32_e32 v5, v21, v29
	v_ashrrev_i32_e32 v6, 31, v5
	v_cmp_gt_i64_e32 vcc, s[44:45], v[5:6]
	v_lshlrev_b64 v[11:12], 2, v[5:6]
	s_waitcnt vmcnt(0)
	v_mov_b32_e32 v31, 0xff800000
	v_mov_b32_e32 v33, 0xff800000
	s_and_saveexec_b64 s[22:23], vcc
	s_cbranch_execz .LBB3_91
; %bb.90:                               ;   in Loop: Header=BB3_89 Depth=2
	v_mov_b32_e32 v6, s68
	v_add_co_u32_e64 v5, s[8:9], s67, v11
	v_addc_co_u32_e64 v6, s[8:9], v6, v12, s[8:9]
	global_load_dword v33, v[5:6], off
.LBB3_91:                               ;   in Loop: Header=BB3_89 Depth=2
	s_or_b64 exec, exec, s[22:23]
	v_add_u32_e32 v5, v24, v29
	v_ashrrev_i32_e32 v6, 31, v5
	v_cmp_gt_i64_e64 s[26:27], s[44:45], v[5:6]
	v_lshlrev_b64 v[9:10], 2, v[5:6]
	s_and_saveexec_b64 s[22:23], s[26:27]
	s_cbranch_execz .LBB3_93
; %bb.92:                               ;   in Loop: Header=BB3_89 Depth=2
	v_mov_b32_e32 v6, s68
	v_add_co_u32_e64 v5, s[8:9], s67, v9
	v_addc_co_u32_e64 v6, s[8:9], v6, v10, s[8:9]
	global_load_dword v31, v[5:6], off
.LBB3_93:                               ;   in Loop: Header=BB3_89 Depth=2
	s_or_b64 exec, exec, s[22:23]
	v_add_u32_e32 v5, v25, v29
	v_ashrrev_i32_e32 v6, 31, v5
	v_cmp_gt_i64_e64 s[22:23], s[44:45], v[5:6]
	v_lshlrev_b64 v[7:8], 2, v[5:6]
	v_mov_b32_e32 v30, 0xff800000
	v_mov_b32_e32 v32, 0xff800000
	s_and_saveexec_b64 s[28:29], s[22:23]
	s_cbranch_execz .LBB3_95
; %bb.94:                               ;   in Loop: Header=BB3_89 Depth=2
	v_mov_b32_e32 v6, s68
	v_add_co_u32_e64 v5, s[8:9], s67, v7
	v_addc_co_u32_e64 v6, s[8:9], v6, v8, s[8:9]
	global_load_dword v32, v[5:6], off
.LBB3_95:                               ;   in Loop: Header=BB3_89 Depth=2
	s_or_b64 exec, exec, s[28:29]
	v_add_u32_e32 v5, v23, v29
	v_ashrrev_i32_e32 v6, 31, v5
	v_cmp_gt_i64_e64 s[8:9], s[44:45], v[5:6]
	v_lshlrev_b64 v[5:6], 2, v[5:6]
	s_and_saveexec_b64 s[56:57], s[8:9]
	s_cbranch_execz .LBB3_100
; %bb.96:                               ;   in Loop: Header=BB3_89 Depth=2
	v_mov_b32_e32 v30, s68
	v_add_co_u32_e64 v34, s[28:29], s67, v5
	v_addc_co_u32_e64 v35, s[28:29], v30, v6, s[28:29]
	global_load_dword v30, v[34:35], off
	s_or_b64 exec, exec, s[56:57]
	s_and_saveexec_b64 s[28:29], vcc
	s_cbranch_execnz .LBB3_101
.LBB3_97:                               ;   in Loop: Header=BB3_89 Depth=2
	s_or_b64 exec, exec, s[28:29]
	s_and_saveexec_b64 s[28:29], s[26:27]
	s_cbranch_execz .LBB3_102
.LBB3_98:                               ;   in Loop: Header=BB3_89 Depth=2
	s_waitcnt vmcnt(0)
	v_div_scale_f32 v11, s[26:27], v28, v28, v31
	v_div_scale_f32 v12, vcc, v31, v28, v31
	v_rcp_f32_e32 v33, v11
	v_fma_f32 v34, -v11, v33, 1.0
	v_fmac_f32_e32 v33, v34, v33
	v_mul_f32_e32 v34, v12, v33
	v_fma_f32 v35, -v11, v34, v12
	v_fmac_f32_e32 v34, v35, v33
	v_fma_f32 v11, -v11, v34, v12
	v_div_fmas_f32 v11, v11, v33, v34
	v_mov_b32_e32 v12, s68
	v_add_co_u32_e32 v9, vcc, s67, v9
	v_addc_co_u32_e32 v10, vcc, v12, v10, vcc
	v_div_fixup_f32 v11, v11, v28, v31
	global_store_dword v[9:10], v11, off
	s_or_b64 exec, exec, s[28:29]
	s_and_saveexec_b64 s[26:27], s[22:23]
	s_cbranch_execnz .LBB3_103
.LBB3_99:                               ;   in Loop: Header=BB3_89 Depth=2
	s_or_b64 exec, exec, s[26:27]
	s_and_saveexec_b64 s[22:23], s[8:9]
	s_cbranch_execz .LBB3_88
	s_branch .LBB3_104
.LBB3_100:                              ;   in Loop: Header=BB3_89 Depth=2
	s_or_b64 exec, exec, s[56:57]
	s_and_saveexec_b64 s[28:29], vcc
	s_cbranch_execz .LBB3_97
.LBB3_101:                              ;   in Loop: Header=BB3_89 Depth=2
	s_waitcnt vmcnt(0)
	v_div_scale_f32 v34, s[56:57], v28, v28, v33
	v_div_scale_f32 v35, vcc, v33, v28, v33
	v_rcp_f32_e32 v36, v34
	v_fma_f32 v37, -v34, v36, 1.0
	v_fmac_f32_e32 v36, v37, v36
	v_mul_f32_e32 v37, v35, v36
	v_fma_f32 v38, -v34, v37, v35
	v_fmac_f32_e32 v37, v38, v36
	v_fma_f32 v34, -v34, v37, v35
	v_div_fmas_f32 v34, v34, v36, v37
	v_mov_b32_e32 v35, s68
	v_add_co_u32_e32 v11, vcc, s67, v11
	v_addc_co_u32_e32 v12, vcc, v35, v12, vcc
	v_div_fixup_f32 v33, v34, v28, v33
	global_store_dword v[11:12], v33, off
	s_or_b64 exec, exec, s[28:29]
	s_and_saveexec_b64 s[28:29], s[26:27]
	s_cbranch_execnz .LBB3_98
.LBB3_102:                              ;   in Loop: Header=BB3_89 Depth=2
	s_or_b64 exec, exec, s[28:29]
	s_and_saveexec_b64 s[26:27], s[22:23]
	s_cbranch_execz .LBB3_99
.LBB3_103:                              ;   in Loop: Header=BB3_89 Depth=2
	s_waitcnt vmcnt(0)
	v_div_scale_f32 v9, s[22:23], v28, v28, v32
	v_div_scale_f32 v10, vcc, v32, v28, v32
	v_rcp_f32_e32 v11, v9
	v_fma_f32 v12, -v9, v11, 1.0
	v_fmac_f32_e32 v11, v12, v11
	v_mul_f32_e32 v12, v10, v11
	v_fma_f32 v31, -v9, v12, v10
	v_fmac_f32_e32 v12, v31, v11
	v_fma_f32 v9, -v9, v12, v10
	v_div_fmas_f32 v9, v9, v11, v12
	v_mov_b32_e32 v10, s68
	v_add_co_u32_e32 v7, vcc, s67, v7
	v_addc_co_u32_e32 v8, vcc, v10, v8, vcc
	v_div_fixup_f32 v9, v9, v28, v32
	global_store_dword v[7:8], v9, off
	s_or_b64 exec, exec, s[26:27]
	s_and_saveexec_b64 s[22:23], s[8:9]
	s_cbranch_execz .LBB3_88
.LBB3_104:                              ;   in Loop: Header=BB3_89 Depth=2
	s_waitcnt vmcnt(0)
	v_div_scale_f32 v7, s[8:9], v28, v28, v30
	v_div_scale_f32 v8, vcc, v30, v28, v30
	v_rcp_f32_e32 v9, v7
	v_fma_f32 v10, -v7, v9, 1.0
	v_fmac_f32_e32 v9, v10, v9
	v_mul_f32_e32 v10, v8, v9
	v_fma_f32 v11, -v7, v10, v8
	v_fmac_f32_e32 v10, v11, v9
	v_fma_f32 v7, -v7, v10, v8
	v_div_fmas_f32 v7, v7, v9, v10
	v_mov_b32_e32 v8, s68
	v_add_co_u32_e32 v5, vcc, s67, v5
	v_addc_co_u32_e32 v6, vcc, v8, v6, vcc
	v_div_fixup_f32 v7, v7, v28, v30
	global_store_dword v[5:6], v7, off
	s_branch .LBB3_88
.LBB3_105:                              ;   in Loop: Header=BB3_5 Depth=1
	s_or_b64 exec, exec, s[30:31]
	s_add_u32 s46, s46, 1
	s_addc_u32 s47, s47, 0
	v_mov_b32_e32 v5, s46
	v_mov_b32_e32 v6, s47
	v_cmp_le_i64_e64 s[26:27], s[34:35], v[5:6]
	s_mov_b64 s[28:29], 0
	s_mov_b64 s[30:31], 0
	;; [unrolled: 1-line block ×4, first 2 shown]
	s_branch .LBB3_4
.LBB3_106:
	s_mov_b64 s[8:9], -1
	s_mov_b64 s[6:7], 0
	s_and_b64 vcc, exec, s[52:53]
	s_cbranch_vccnz .LBB3_112
; %bb.107:
	s_xor_b64 s[6:7], s[54:55], -1
	s_and_b64 vcc, exec, s[6:7]
	s_cbranch_vccz .LBB3_114
; %bb.108:
	s_xor_b64 s[6:7], s[56:57], -1
	s_and_b64 vcc, exec, s[6:7]
	s_cbranch_vccz .LBB3_115
	;; [unrolled: 4-line block ×3, first 2 shown]
; %bb.110:
	s_mov_b64 s[26:27], 0
	s_and_b64 vcc, exec, s[28:29]
	s_mov_b64 s[6:7], 0
	s_cbranch_vccz .LBB3_117
; %bb.111:
	s_add_u32 s8, s4, 0xa0
	s_addc_u32 s9, s5, 0
	s_getpc_b64 s[6:7]
	s_add_u32 s6, s6, .str.2@rel32@lo+4
	s_addc_u32 s7, s7, .str.2@rel32@hi+12
	s_getpc_b64 s[10:11]
	s_add_u32 s10, s10, .str.3@rel32@lo+4
	s_addc_u32 s11, s11, .str.3@rel32@hi+12
	s_getpc_b64 s[12:13]
	s_add_u32 s12, s12, __PRETTY_FUNCTION__._ZL12block_reduceIL19block_reduce_method1ELj0EfET1_S1_PS1_@rel32@lo+4
	s_addc_u32 s13, s13, __PRETTY_FUNCTION__._ZL12block_reduceIL19block_reduce_method1ELj0EfET1_S1_PS1_@rel32@hi+12
	s_getpc_b64 s[14:15]
	s_add_u32 s14, s14, __assert_fail@rel32@lo+4
	s_addc_u32 s15, s15, __assert_fail@rel32@hi+12
	v_mov_b32_e32 v0, s6
	v_mov_b32_e32 v1, s7
	;; [unrolled: 1-line block ×7, first 2 shown]
	s_mov_b64 s[28:29], s[4:5]
	s_swappc_b64 s[30:31], s[14:15]
	s_mov_b64 s[4:5], s[28:29]
	s_mov_b64 s[6:7], -1
	s_branch .LBB3_117
.LBB3_112:
	s_and_b64 vcc, exec, s[8:9]
	s_cbranch_vccz .LBB3_124
; %bb.113:
	s_add_u32 s8, s4, 0xa0
	s_addc_u32 s9, s5, 0
	s_getpc_b64 s[4:5]
	s_add_u32 s4, s4, .str.2@rel32@lo+4
	s_addc_u32 s5, s5, .str.2@rel32@hi+12
	s_getpc_b64 s[6:7]
	s_add_u32 s6, s6, .str.3@rel32@lo+4
	s_addc_u32 s7, s7, .str.3@rel32@hi+12
	s_getpc_b64 s[10:11]
	s_add_u32 s10, s10, __PRETTY_FUNCTION__._ZL12block_reduceIL19block_reduce_method0ELj0EfET1_S1_PS1_@rel32@lo+4
	s_addc_u32 s11, s11, __PRETTY_FUNCTION__._ZL12block_reduceIL19block_reduce_method0ELj0EfET1_S1_PS1_@rel32@hi+12
	s_getpc_b64 s[12:13]
	s_add_u32 s12, s12, __assert_fail@rel32@lo+4
	s_addc_u32 s13, s13, __assert_fail@rel32@hi+12
	v_mov_b32_e32 v0, s4
	v_mov_b32_e32 v1, s5
	;; [unrolled: 1-line block ×7, first 2 shown]
	s_swappc_b64 s[30:31], s[12:13]
	s_branch .LBB3_125
.LBB3_114:
	s_mov_b64 s[6:7], 0
	s_and_b64 vcc, exec, s[8:9]
	s_cbranch_vccnz .LBB3_122
	s_branch .LBB3_123
.LBB3_115:
	s_mov_b64 s[6:7], 0
	s_and_b64 vcc, exec, s[8:9]
	s_cbranch_vccnz .LBB3_120
	s_branch .LBB3_121
.LBB3_116:
	s_mov_b64 s[26:27], -1
	s_mov_b64 s[6:7], 0
.LBB3_117:
	s_and_b64 vcc, exec, s[26:27]
	s_cbranch_vccz .LBB3_119
; %bb.118:
	s_add_u32 s8, s4, 0xa0
	s_addc_u32 s9, s5, 0
	s_getpc_b64 s[6:7]
	s_add_u32 s6, s6, .str.2@rel32@lo+4
	s_addc_u32 s7, s7, .str.2@rel32@hi+12
	s_getpc_b64 s[10:11]
	s_add_u32 s10, s10, .str.3@rel32@lo+4
	s_addc_u32 s11, s11, .str.3@rel32@hi+12
	s_getpc_b64 s[12:13]
	s_add_u32 s12, s12, __PRETTY_FUNCTION__._ZL12block_reduceIL19block_reduce_method1ELj0EfET1_S1_PS1_@rel32@lo+4
	s_addc_u32 s13, s13, __PRETTY_FUNCTION__._ZL12block_reduceIL19block_reduce_method1ELj0EfET1_S1_PS1_@rel32@hi+12
	s_getpc_b64 s[14:15]
	s_add_u32 s14, s14, __assert_fail@rel32@lo+4
	s_addc_u32 s15, s15, __assert_fail@rel32@hi+12
	v_mov_b32_e32 v0, s6
	v_mov_b32_e32 v1, s7
	;; [unrolled: 1-line block ×7, first 2 shown]
	s_mov_b64 s[26:27], s[4:5]
	s_swappc_b64 s[30:31], s[14:15]
	s_mov_b64 s[4:5], s[26:27]
	s_mov_b64 s[6:7], -1
.LBB3_119:
	s_branch .LBB3_121
.LBB3_120:
	s_add_u32 s8, s4, 0xa0
	s_addc_u32 s9, s5, 0
	s_getpc_b64 s[6:7]
	s_add_u32 s6, s6, .str.2@rel32@lo+4
	s_addc_u32 s7, s7, .str.2@rel32@hi+12
	s_getpc_b64 s[10:11]
	s_add_u32 s10, s10, .str.3@rel32@lo+4
	s_addc_u32 s11, s11, .str.3@rel32@hi+12
	s_getpc_b64 s[12:13]
	s_add_u32 s12, s12, __PRETTY_FUNCTION__._ZL12block_reduceIL19block_reduce_method0ELj0EfET1_S1_PS1_@rel32@lo+4
	s_addc_u32 s13, s13, __PRETTY_FUNCTION__._ZL12block_reduceIL19block_reduce_method0ELj0EfET1_S1_PS1_@rel32@hi+12
	s_getpc_b64 s[14:15]
	s_add_u32 s14, s14, __assert_fail@rel32@lo+4
	s_addc_u32 s15, s15, __assert_fail@rel32@hi+12
	v_mov_b32_e32 v0, s6
	v_mov_b32_e32 v1, s7
	;; [unrolled: 1-line block ×7, first 2 shown]
	s_mov_b64 s[26:27], s[4:5]
	s_swappc_b64 s[30:31], s[14:15]
	s_mov_b64 s[4:5], s[26:27]
	s_mov_b64 s[6:7], -1
.LBB3_121:
	s_branch .LBB3_123
.LBB3_122:
	s_add_u32 s8, s4, 0xa0
	s_addc_u32 s9, s5, 0
	s_getpc_b64 s[6:7]
	s_add_u32 s6, s6, .str@rel32@lo+4
	s_addc_u32 s7, s7, .str@rel32@hi+12
	s_getpc_b64 s[10:11]
	s_add_u32 s10, s10, .str.1@rel32@lo+4
	s_addc_u32 s11, s11, .str.1@rel32@hi+12
	s_getpc_b64 s[12:13]
	s_add_u32 s12, s12, __PRETTY_FUNCTION__._ZL40soft_max_f32_parallelize_cols_single_rowPKfPfS1_S1_15soft_max_params@rel32@lo+4
	s_addc_u32 s13, s13, __PRETTY_FUNCTION__._ZL40soft_max_f32_parallelize_cols_single_rowPKfPfS1_S1_15soft_max_params@rel32@hi+12
	s_getpc_b64 s[14:15]
	s_add_u32 s14, s14, __assert_fail@rel32@lo+4
	s_addc_u32 s15, s15, __assert_fail@rel32@hi+12
	v_mov_b32_e32 v0, s6
	v_mov_b32_e32 v1, s7
	;; [unrolled: 1-line block ×7, first 2 shown]
	s_mov_b64 s[26:27], s[4:5]
	s_swappc_b64 s[30:31], s[14:15]
	s_mov_b64 s[4:5], s[26:27]
	s_mov_b64 s[6:7], -1
.LBB3_123:
.LBB3_124:
	s_andn2_b64 vcc, exec, s[6:7]
	s_cbranch_vccnz .LBB3_126
.LBB3_125:
	; divergent unreachable
.LBB3_126:
	s_endpgm
	.section	.rodata,"a",@progbits
	.p2align	6, 0x0
	.amdhsa_kernel _ZL29soft_max_f32_parallelize_colsPKfPfS1_S1_15soft_max_params
		.amdhsa_group_segment_fixed_size 128
		.amdhsa_private_segment_fixed_size 64
		.amdhsa_kernarg_size 416
		.amdhsa_user_sgpr_count 8
		.amdhsa_user_sgpr_private_segment_buffer 1
		.amdhsa_user_sgpr_dispatch_ptr 0
		.amdhsa_user_sgpr_queue_ptr 0
		.amdhsa_user_sgpr_kernarg_segment_ptr 1
		.amdhsa_user_sgpr_dispatch_id 0
		.amdhsa_user_sgpr_flat_scratch_init 1
		.amdhsa_user_sgpr_private_segment_size 0
		.amdhsa_uses_dynamic_stack 0
		.amdhsa_system_sgpr_private_segment_wavefront_offset 1
		.amdhsa_system_sgpr_workgroup_id_x 1
		.amdhsa_system_sgpr_workgroup_id_y 0
		.amdhsa_system_sgpr_workgroup_id_z 0
		.amdhsa_system_sgpr_workgroup_info 0
		.amdhsa_system_vgpr_workitem_id 2
		.amdhsa_next_free_vgpr 53
		.amdhsa_next_free_sgpr 71
		.amdhsa_reserve_vcc 1
		.amdhsa_reserve_flat_scratch 1
		.amdhsa_float_round_mode_32 0
		.amdhsa_float_round_mode_16_64 0
		.amdhsa_float_denorm_mode_32 3
		.amdhsa_float_denorm_mode_16_64 3
		.amdhsa_dx10_clamp 1
		.amdhsa_ieee_mode 1
		.amdhsa_fp16_overflow 0
		.amdhsa_exception_fp_ieee_invalid_op 0
		.amdhsa_exception_fp_denorm_src 0
		.amdhsa_exception_fp_ieee_div_zero 0
		.amdhsa_exception_fp_ieee_overflow 0
		.amdhsa_exception_fp_ieee_underflow 0
		.amdhsa_exception_fp_ieee_inexact 0
		.amdhsa_exception_int_div_zero 0
	.end_amdhsa_kernel
	.section	.text._ZL29soft_max_f32_parallelize_colsPKfPfS1_S1_15soft_max_params,"axG",@progbits,_ZL29soft_max_f32_parallelize_colsPKfPfS1_S1_15soft_max_params,comdat
.Lfunc_end3:
	.size	_ZL29soft_max_f32_parallelize_colsPKfPfS1_S1_15soft_max_params, .Lfunc_end3-_ZL29soft_max_f32_parallelize_colsPKfPfS1_S1_15soft_max_params
                                        ; -- End function
	.set _ZL29soft_max_f32_parallelize_colsPKfPfS1_S1_15soft_max_params.num_vgpr, max(39, .L__assert_fail.num_vgpr)
	.set _ZL29soft_max_f32_parallelize_colsPKfPfS1_S1_15soft_max_params.num_agpr, max(0, .L__assert_fail.num_agpr)
	.set _ZL29soft_max_f32_parallelize_colsPKfPfS1_S1_15soft_max_params.numbered_sgpr, max(71, .L__assert_fail.numbered_sgpr)
	.set _ZL29soft_max_f32_parallelize_colsPKfPfS1_S1_15soft_max_params.num_named_barrier, max(0, .L__assert_fail.num_named_barrier)
	.set _ZL29soft_max_f32_parallelize_colsPKfPfS1_S1_15soft_max_params.private_seg_size, 0+max(.L__assert_fail.private_seg_size)
	.set _ZL29soft_max_f32_parallelize_colsPKfPfS1_S1_15soft_max_params.uses_vcc, or(1, .L__assert_fail.uses_vcc)
	.set _ZL29soft_max_f32_parallelize_colsPKfPfS1_S1_15soft_max_params.uses_flat_scratch, or(1, .L__assert_fail.uses_flat_scratch)
	.set _ZL29soft_max_f32_parallelize_colsPKfPfS1_S1_15soft_max_params.has_dyn_sized_stack, or(0, .L__assert_fail.has_dyn_sized_stack)
	.set _ZL29soft_max_f32_parallelize_colsPKfPfS1_S1_15soft_max_params.has_recursion, or(0, .L__assert_fail.has_recursion)
	.set _ZL29soft_max_f32_parallelize_colsPKfPfS1_S1_15soft_max_params.has_indirect_call, or(0, .L__assert_fail.has_indirect_call)
	.section	.AMDGPU.csdata,"",@progbits
; Kernel info:
; codeLenInByte = 5024
; TotalNumSgprs: 77
; NumVgprs: 53
; ScratchSize: 64
; MemoryBound: 0
; FloatMode: 240
; IeeeMode: 1
; LDSByteSize: 128 bytes/workgroup (compile time only)
; SGPRBlocks: 9
; VGPRBlocks: 13
; NumSGPRsForWavesPerEU: 77
; NumVGPRsForWavesPerEU: 53
; Occupancy: 4
; WaveLimiterHint : 1
; COMPUTE_PGM_RSRC2:SCRATCH_EN: 1
; COMPUTE_PGM_RSRC2:USER_SGPR: 8
; COMPUTE_PGM_RSRC2:TRAP_HANDLER: 0
; COMPUTE_PGM_RSRC2:TGID_X_EN: 1
; COMPUTE_PGM_RSRC2:TGID_Y_EN: 0
; COMPUTE_PGM_RSRC2:TGID_Z_EN: 0
; COMPUTE_PGM_RSRC2:TIDIG_COMP_CNT: 2
	.section	.text._ZL12soft_max_f32ILb1ELi4096ELi1024E6__halfEvPKfPKT2_S2_Pf15soft_max_params,"axG",@progbits,_ZL12soft_max_f32ILb1ELi4096ELi1024E6__halfEvPKfPKT2_S2_Pf15soft_max_params,comdat
	.globl	_ZL12soft_max_f32ILb1ELi4096ELi1024E6__halfEvPKfPKT2_S2_Pf15soft_max_params ; -- Begin function _ZL12soft_max_f32ILb1ELi4096ELi1024E6__halfEvPKfPKT2_S2_Pf15soft_max_params
	.p2align	8
	.type	_ZL12soft_max_f32ILb1ELi4096ELi1024E6__halfEvPKfPKT2_S2_Pf15soft_max_params,@function
_ZL12soft_max_f32ILb1ELi4096ELi1024E6__halfEvPKfPKT2_S2_Pf15soft_max_params: ; @_ZL12soft_max_f32ILb1ELi4096ELi1024E6__halfEvPKfPKT2_S2_Pf15soft_max_params
; %bb.0:
	s_load_dwordx8 s[12:19], s[4:5], 0x68
	s_load_dwordx2 s[0:1], s[4:5], 0x88
	s_mov_b32 s11, 0
	s_mov_b32 s2, s11
	;; [unrolled: 1-line block ×3, first 2 shown]
	s_waitcnt lgkmcnt(0)
	s_mov_b32 s3, s19
	s_cmp_lg_u64 s[2:3], 0
	s_cbranch_scc0 .LBB4_10
; %bb.1:
	s_ashr_i32 s2, s19, 31
	s_add_u32 s20, s18, s2
	s_mov_b32 s3, s2
	s_addc_u32 s21, s19, s2
	s_xor_b64 s[20:21], s[20:21], s[2:3]
	v_cvt_f32_u32_e32 v1, s20
	v_cvt_f32_u32_e32 v2, s21
	s_sub_u32 s7, 0, s20
	s_subb_u32 s9, 0, s21
	v_madmk_f32 v1, v2, 0x4f800000, v1
	v_rcp_f32_e32 v1, v1
	v_mul_f32_e32 v1, 0x5f7ffffc, v1
	v_mul_f32_e32 v2, 0x2f800000, v1
	v_trunc_f32_e32 v2, v2
	v_madmk_f32 v1, v2, 0xcf800000, v1
	v_cvt_u32_f32_e32 v2, v2
	v_cvt_u32_f32_e32 v1, v1
	v_readfirstlane_b32 s19, v2
	v_readfirstlane_b32 s22, v1
	s_mul_i32 s23, s7, s19
	s_mul_hi_u32 s25, s7, s22
	s_mul_i32 s24, s9, s22
	s_add_i32 s23, s25, s23
	s_add_i32 s23, s23, s24
	s_mul_i32 s26, s7, s22
	s_mul_i32 s25, s22, s23
	s_mul_hi_u32 s27, s22, s26
	s_mul_hi_u32 s24, s22, s23
	s_add_u32 s25, s27, s25
	s_addc_u32 s24, 0, s24
	s_mul_hi_u32 s28, s19, s26
	s_mul_i32 s26, s19, s26
	s_add_u32 s25, s25, s26
	s_mul_hi_u32 s27, s19, s23
	s_addc_u32 s24, s24, s28
	s_addc_u32 s25, s27, 0
	s_mul_i32 s23, s19, s23
	s_add_u32 s23, s24, s23
	s_addc_u32 s24, 0, s25
	s_add_u32 s25, s22, s23
	s_cselect_b64 s[22:23], -1, 0
	s_cmp_lg_u64 s[22:23], 0
	s_addc_u32 s19, s19, s24
	s_mul_i32 s22, s7, s19
	s_mul_hi_u32 s23, s7, s25
	s_add_i32 s22, s23, s22
	s_mul_i32 s9, s9, s25
	s_add_i32 s22, s22, s9
	s_mul_i32 s7, s7, s25
	s_mul_hi_u32 s23, s19, s7
	s_mul_i32 s24, s19, s7
	s_mul_i32 s27, s25, s22
	s_mul_hi_u32 s7, s25, s7
	s_mul_hi_u32 s26, s25, s22
	s_add_u32 s7, s7, s27
	s_addc_u32 s26, 0, s26
	s_add_u32 s7, s7, s24
	s_mul_hi_u32 s9, s19, s22
	s_addc_u32 s7, s26, s23
	s_addc_u32 s9, s9, 0
	s_mul_i32 s22, s19, s22
	s_add_u32 s7, s7, s22
	s_addc_u32 s9, 0, s9
	s_add_u32 s7, s25, s7
	s_cselect_b64 s[22:23], -1, 0
	s_cmp_lg_u64 s[22:23], 0
	s_addc_u32 s9, s19, s9
	s_add_u32 s22, s10, 0
	s_addc_u32 s23, 0, 0
	s_xor_b64 s[22:23], s[22:23], 0
	s_mul_i32 s24, s22, s9
	s_mul_hi_u32 s25, s22, s7
	s_mul_hi_u32 s19, s22, s9
	s_add_u32 s24, s25, s24
	s_addc_u32 s19, 0, s19
	s_mul_hi_u32 s26, s23, s7
	s_mul_i32 s7, s23, s7
	s_add_u32 s7, s24, s7
	s_mul_hi_u32 s25, s23, s9
	s_addc_u32 s7, s19, s26
	s_addc_u32 s19, s25, 0
	s_mul_i32 s9, s23, s9
	s_add_u32 s7, s7, s9
	s_addc_u32 s9, 0, s19
	s_mul_i32 s9, s20, s9
	s_mul_hi_u32 s19, s20, s7
	s_add_i32 s9, s19, s9
	s_mul_i32 s19, s21, s7
	s_add_i32 s9, s9, s19
	s_sub_i32 s19, s23, s9
	s_mul_i32 s7, s20, s7
	s_sub_u32 s7, s22, s7
	s_cselect_b64 s[24:25], -1, 0
	s_cmp_lg_u64 s[24:25], 0
	s_subb_u32 s19, s19, s21
	s_sub_u32 s22, s7, s20
	s_cselect_b64 s[26:27], -1, 0
	s_cmp_lg_u64 s[26:27], 0
	s_subb_u32 s28, s19, 0
	s_cmp_ge_u32 s28, s21
	s_cselect_b32 s29, -1, 0
	s_cmp_ge_u32 s22, s20
	s_cselect_b32 s30, -1, 0
	s_cmp_eq_u32 s28, s21
	s_cselect_b32 s29, s30, s29
	s_cmp_lg_u64 s[26:27], 0
	s_subb_u32 s19, s19, s21
	s_sub_u32 s30, s22, s20
	s_cselect_b64 s[26:27], -1, 0
	s_cmp_lg_u64 s[26:27], 0
	s_subb_u32 s19, s19, 0
	s_cmp_lg_u32 s29, 0
	s_cselect_b32 s22, s30, s22
	s_cselect_b32 s19, s19, s28
	s_cmp_lg_u64 s[24:25], 0
	s_subb_u32 s9, s23, s9
	s_cmp_ge_u32 s9, s21
	s_cselect_b32 s23, -1, 0
	s_cmp_ge_u32 s7, s20
	s_cselect_b32 s20, -1, 0
	s_cmp_eq_u32 s9, s21
	s_cselect_b32 s20, s20, s23
	s_cmp_lg_u32 s20, 0
	s_cselect_b32 s21, s19, s9
	s_cselect_b32 s20, s22, s7
	s_xor_b64 s[20:21], s[20:21], 0
	s_sub_u32 s28, s20, 0
	s_subb_u32 s29, s21, 0
	s_cbranch_execnz .LBB4_3
.LBB4_2:
	v_cvt_f32_u32_e32 v1, s18
	s_sub_i32 s2, 0, s18
	s_mov_b32 s29, 0
	v_rcp_iflag_f32_e32 v1, v1
	v_mul_f32_e32 v1, 0x4f7ffffe, v1
	v_cvt_u32_f32_e32 v1, v1
	v_readfirstlane_b32 s3, v1
	s_mul_i32 s2, s2, s3
	s_mul_hi_u32 s2, s3, s2
	s_add_i32 s3, s3, s2
	s_mul_hi_u32 s2, s10, s3
	s_mul_i32 s2, s2, s18
	s_sub_i32 s2, s10, s2
	s_sub_i32 s3, s2, s18
	s_cmp_ge_u32 s2, s18
	s_cselect_b32 s2, s3, s2
	s_sub_i32 s3, s2, s18
	s_cmp_ge_u32 s2, s18
	s_cselect_b32 s28, s3, s2
.LBB4_3:
	s_load_dwordx2 s[18:19], s[4:5], 0x90
	s_mov_b32 s2, 0
	s_mov_b32 s3, s1
	s_cmp_lg_u64 s[2:3], 0
	s_cbranch_scc0 .LBB4_11
; %bb.4:
	s_ashr_i32 s2, s1, 31
	s_add_u32 s20, s0, s2
	s_mov_b32 s3, s2
	s_addc_u32 s21, s1, s2
	s_xor_b64 s[20:21], s[20:21], s[2:3]
	v_cvt_f32_u32_e32 v1, s20
	v_cvt_f32_u32_e32 v2, s21
	s_sub_u32 s1, 0, s20
	s_subb_u32 s7, 0, s21
	v_madmk_f32 v1, v2, 0x4f800000, v1
	v_rcp_f32_e32 v1, v1
	v_mul_f32_e32 v1, 0x5f7ffffc, v1
	v_mul_f32_e32 v2, 0x2f800000, v1
	v_trunc_f32_e32 v2, v2
	v_madmk_f32 v1, v2, 0xcf800000, v1
	v_cvt_u32_f32_e32 v2, v2
	v_cvt_u32_f32_e32 v1, v1
	v_readfirstlane_b32 s9, v2
	v_readfirstlane_b32 s22, v1
	s_mul_i32 s23, s1, s9
	s_mul_hi_u32 s25, s1, s22
	s_mul_i32 s24, s7, s22
	s_add_i32 s23, s25, s23
	s_add_i32 s23, s23, s24
	s_mul_i32 s26, s1, s22
	s_mul_i32 s25, s22, s23
	s_mul_hi_u32 s27, s22, s26
	s_mul_hi_u32 s24, s22, s23
	s_add_u32 s25, s27, s25
	s_addc_u32 s24, 0, s24
	s_mul_hi_u32 s30, s9, s26
	s_mul_i32 s26, s9, s26
	s_add_u32 s25, s25, s26
	s_mul_hi_u32 s27, s9, s23
	s_addc_u32 s24, s24, s30
	s_addc_u32 s25, s27, 0
	s_mul_i32 s23, s9, s23
	s_add_u32 s23, s24, s23
	s_addc_u32 s24, 0, s25
	s_add_u32 s25, s22, s23
	s_cselect_b64 s[22:23], -1, 0
	s_cmp_lg_u64 s[22:23], 0
	s_addc_u32 s9, s9, s24
	s_mul_i32 s22, s1, s9
	s_mul_hi_u32 s23, s1, s25
	s_add_i32 s22, s23, s22
	s_mul_i32 s7, s7, s25
	s_add_i32 s22, s22, s7
	s_mul_i32 s1, s1, s25
	s_mul_hi_u32 s23, s9, s1
	s_mul_i32 s24, s9, s1
	s_mul_i32 s27, s25, s22
	s_mul_hi_u32 s1, s25, s1
	s_mul_hi_u32 s26, s25, s22
	s_add_u32 s1, s1, s27
	s_addc_u32 s26, 0, s26
	s_add_u32 s1, s1, s24
	s_mul_hi_u32 s7, s9, s22
	s_addc_u32 s1, s26, s23
	s_addc_u32 s7, s7, 0
	s_mul_i32 s22, s9, s22
	s_add_u32 s1, s1, s22
	s_addc_u32 s7, 0, s7
	s_add_u32 s1, s25, s1
	s_cselect_b64 s[22:23], -1, 0
	s_cmp_lg_u64 s[22:23], 0
	s_addc_u32 s7, s9, s7
	s_add_u32 s22, s8, 0
	s_addc_u32 s23, 0, 0
	s_xor_b64 s[22:23], s[22:23], 0
	s_mul_i32 s24, s22, s7
	s_mul_hi_u32 s25, s22, s1
	s_mul_hi_u32 s9, s22, s7
	s_add_u32 s24, s25, s24
	s_addc_u32 s9, 0, s9
	s_mul_hi_u32 s26, s23, s1
	s_mul_i32 s1, s23, s1
	s_add_u32 s1, s24, s1
	s_mul_hi_u32 s25, s23, s7
	s_addc_u32 s1, s9, s26
	s_addc_u32 s9, s25, 0
	s_mul_i32 s7, s23, s7
	s_add_u32 s1, s1, s7
	s_addc_u32 s7, 0, s9
	s_mul_i32 s7, s20, s7
	s_mul_hi_u32 s9, s20, s1
	s_add_i32 s7, s9, s7
	s_mul_i32 s9, s21, s1
	s_add_i32 s7, s7, s9
	s_sub_i32 s9, s23, s7
	s_mul_i32 s1, s20, s1
	s_sub_u32 s1, s22, s1
	s_cselect_b64 s[24:25], -1, 0
	s_cmp_lg_u64 s[24:25], 0
	s_subb_u32 s9, s9, s21
	s_sub_u32 s22, s1, s20
	s_cselect_b64 s[26:27], -1, 0
	s_cmp_lg_u64 s[26:27], 0
	s_subb_u32 s30, s9, 0
	s_cmp_ge_u32 s30, s21
	s_cselect_b32 s31, -1, 0
	s_cmp_ge_u32 s22, s20
	s_cselect_b32 s33, -1, 0
	s_cmp_eq_u32 s30, s21
	s_cselect_b32 s31, s33, s31
	s_cmp_lg_u64 s[26:27], 0
	s_subb_u32 s9, s9, s21
	s_sub_u32 s33, s22, s20
	s_cselect_b64 s[26:27], -1, 0
	s_cmp_lg_u64 s[26:27], 0
	s_subb_u32 s9, s9, 0
	s_cmp_lg_u32 s31, 0
	s_cselect_b32 s22, s33, s22
	s_cselect_b32 s9, s9, s30
	s_cmp_lg_u64 s[24:25], 0
	s_subb_u32 s7, s23, s7
	s_cmp_ge_u32 s7, s21
	s_cselect_b32 s23, -1, 0
	s_cmp_ge_u32 s1, s20
	s_cselect_b32 s20, -1, 0
	s_cmp_eq_u32 s7, s21
	s_cselect_b32 s20, s20, s23
	s_cmp_lg_u32 s20, 0
	s_cselect_b32 s21, s9, s7
	s_cselect_b32 s20, s22, s1
	s_xor_b64 s[20:21], s[20:21], 0
	s_sub_u32 s30, s20, 0
	s_subb_u32 s31, s21, 0
	s_cbranch_execnz .LBB4_6
.LBB4_5:
	v_cvt_f32_u32_e32 v1, s0
	s_sub_i32 s1, 0, s0
	s_mov_b32 s31, 0
	v_rcp_iflag_f32_e32 v1, v1
	v_mul_f32_e32 v1, 0x4f7ffffe, v1
	v_cvt_u32_f32_e32 v1, v1
	v_readfirstlane_b32 s2, v1
	s_mul_i32 s1, s1, s2
	s_mul_hi_u32 s1, s2, s1
	s_add_i32 s2, s2, s1
	s_mul_hi_u32 s1, s8, s2
	s_mul_i32 s1, s1, s0
	s_sub_i32 s1, s8, s1
	s_sub_i32 s2, s1, s0
	s_cmp_ge_u32 s1, s0
	s_cselect_b32 s1, s2, s1
	s_sub_i32 s2, s1, s0
	s_cmp_ge_u32 s1, s0
	s_cselect_b32 s30, s2, s1
.LBB4_6:
	s_load_dwordx2 s[34:35], s[4:5], 0xa0
	s_waitcnt lgkmcnt(0)
	v_cmp_le_f32_e64 s[0:1], s19, 0
	s_and_b64 vcc, exec, s[0:1]
	v_mov_b32_e32 v6, 1.0
	s_cbranch_vccnz .LBB4_8
; %bb.7:
	s_load_dword s2, s[4:5], 0x28
	s_load_dwordx2 s[0:1], s[4:5], 0x98
	s_add_i32 s3, s10, 1
	s_waitcnt lgkmcnt(0)
	s_sub_i32 s7, s10, s2
	v_mov_b32_e32 v2, s0
	s_lshl_b32 s0, s7, 1
	s_or_b32 s7, s0, 1
	s_cmp_lt_u32 s10, s2
	s_cselect_b64 vcc, -1, 0
	v_mov_b32_e32 v1, s1
	s_and_b64 s[0:1], vcc, exec
	s_cselect_b32 s0, s3, s7
	v_cndmask_b32_e32 v1, v1, v2, vcc
	v_cvt_f32_i32_e32 v2, s0
	v_cmp_neq_f32_e32 vcc, 1.0, v1
	s_mov_b32 s0, 0x3f2aaaab
	s_movk_i32 s2, 0x204
	v_cndmask_b32_e32 v2, 1.0, v2, vcc
	v_cmp_neq_f32_e32 vcc, 0, v2
	v_cndmask_b32_e32 v1, 1.0, v1, vcc
	v_frexp_mant_f32_e64 v3, |v1|
	v_cmp_gt_f32_e32 vcc, s0, v3
	v_cndmask_b32_e64 v4, 1.0, 2.0, vcc
	v_mul_f32_e32 v3, v3, v4
	v_add_f32_e32 v4, 1.0, v3
	v_rcp_f32_e32 v5, v4
	v_add_f32_e32 v6, -1.0, v3
	v_add_f32_e32 v7, -1.0, v4
	v_sub_f32_e32 v3, v3, v7
	v_mul_f32_e32 v7, v6, v5
	v_mul_f32_e32 v8, v4, v7
	v_fma_f32 v4, v7, v4, -v8
	v_fmac_f32_e32 v4, v7, v3
	v_add_f32_e32 v3, v8, v4
	v_sub_f32_e32 v9, v6, v3
	v_sub_f32_e32 v8, v3, v8
	;; [unrolled: 1-line block ×5, first 2 shown]
	v_add_f32_e32 v3, v4, v3
	v_add_f32_e32 v3, v9, v3
	v_mul_f32_e32 v3, v5, v3
	v_add_f32_e32 v5, v7, v3
	v_sub_f32_e32 v4, v5, v7
	v_sub_f32_e32 v6, v3, v4
	v_mul_f32_e32 v3, v5, v5
	v_fma_f32 v4, v5, v5, -v3
	v_add_f32_e32 v7, v6, v6
	v_fmac_f32_e32 v4, v5, v7
	v_add_f32_e32 v7, v3, v4
	v_mov_b32_e32 v8, 0x3e91f4c4
	v_sub_f32_e32 v3, v7, v3
	v_fmac_f32_e32 v8, 0x3e76c4e1, v7
	v_mov_b32_e32 v9, 0x3ecccdef
	v_sub_f32_e32 v3, v4, v3
	v_mul_f32_e32 v4, v5, v7
	v_fmac_f32_e32 v9, v7, v8
	v_fma_f32 v8, v7, v5, -v4
	v_fmac_f32_e32 v8, v7, v6
	v_fmac_f32_e32 v8, v3, v5
	v_add_f32_e32 v10, v4, v8
	v_sub_f32_e32 v4, v10, v4
	v_sub_f32_e32 v8, v8, v4
	v_mul_f32_e32 v4, v7, v9
	v_fma_f32 v7, v7, v9, -v4
	v_fmac_f32_e32 v7, v3, v9
	v_add_f32_e32 v9, v4, v7
	v_sub_f32_e32 v3, v9, v4
	v_sub_f32_e32 v7, v7, v3
	v_cvt_f64_f32_e64 v[3:4], |v1|
	v_add_f32_e32 v11, 0x3f2aaaaa, v9
	v_add_f32_e32 v12, 0xbf2aaaaa, v11
	;; [unrolled: 1-line block ×3, first 2 shown]
	v_frexp_exp_i32_f64_e32 v3, v[3:4]
	v_sub_f32_e32 v9, v9, v12
	v_add_f32_e32 v4, v7, v9
	v_add_f32_e32 v7, v11, v4
	v_sub_f32_e32 v9, v11, v7
	v_add_f32_e32 v4, v4, v9
	v_mul_f32_e32 v9, v10, v7
	v_fma_f32 v11, v10, v7, -v9
	v_subbrev_co_u32_e32 v3, vcc, 0, v3, vcc
	v_cvt_f32_i32_e32 v3, v3
	v_fmac_f32_e32 v11, v10, v4
	s_mov_b32 s0, 0x3f317218
	v_fmac_f32_e32 v11, v8, v7
	v_mul_f32_e32 v4, 0x3f317218, v3
	v_fma_f32 v7, v3, s0, -v4
	v_fmac_f32_e32 v7, 0xb102e308, v3
	v_ldexp_f32 v3, v6, 1
	v_add_f32_e32 v6, v4, v7
	v_sub_f32_e32 v4, v6, v4
	v_ldexp_f32 v5, v5, 1
	v_sub_f32_e32 v4, v7, v4
	v_add_f32_e32 v7, v9, v11
	v_sub_f32_e32 v8, v7, v9
	v_add_f32_e32 v9, v5, v7
	v_sub_f32_e32 v8, v11, v8
	v_sub_f32_e32 v5, v9, v5
	;; [unrolled: 1-line block ×3, first 2 shown]
	v_add_f32_e32 v3, v3, v8
	v_add_f32_e32 v3, v3, v5
	;; [unrolled: 1-line block ×3, first 2 shown]
	v_sub_f32_e32 v7, v5, v9
	v_sub_f32_e32 v3, v3, v7
	v_add_f32_e32 v7, v6, v5
	v_sub_f32_e32 v8, v7, v6
	v_sub_f32_e32 v9, v7, v8
	;; [unrolled: 1-line block ×4, first 2 shown]
	v_add_f32_e32 v5, v5, v6
	v_add_f32_e32 v6, v4, v3
	v_sub_f32_e32 v8, v6, v4
	v_sub_f32_e32 v9, v6, v8
	;; [unrolled: 1-line block ×4, first 2 shown]
	v_add_f32_e32 v3, v3, v4
	v_add_f32_e32 v4, v6, v5
	;; [unrolled: 1-line block ×3, first 2 shown]
	v_sub_f32_e32 v6, v5, v7
	v_sub_f32_e32 v4, v4, v6
	v_add_f32_e32 v3, v3, v4
	v_add_f32_e32 v4, v5, v3
	v_sub_f32_e32 v5, v4, v5
	v_sub_f32_e32 v3, v3, v5
	v_mul_f32_e32 v5, v2, v4
	v_fma_f32 v4, v2, v4, -v5
	v_fmac_f32_e32 v4, v2, v3
	v_add_f32_e32 v3, v5, v4
	v_cmp_class_f32_e64 vcc, v5, s2
	v_sub_f32_e32 v6, v3, v5
	v_cndmask_b32_e32 v3, v3, v5, vcc
	s_mov_b32 s1, 0x42b17218
	v_mov_b32_e32 v5, 0x37000000
	v_cmp_eq_f32_e32 vcc, s1, v3
	v_cndmask_b32_e32 v5, 0, v5, vcc
	v_sub_f32_e32 v4, v4, v6
	v_sub_f32_e32 v6, v3, v5
	s_mov_b32 s3, 0x3fb8aa3b
	v_mul_f32_e32 v7, 0x3fb8aa3b, v6
	v_fma_f32 v8, v6, s3, -v7
	v_rndne_f32_e32 v9, v7
	v_fmac_f32_e32 v8, 0x32a5705f, v6
	v_sub_f32_e32 v7, v7, v9
	v_add_f32_e32 v7, v7, v8
	v_exp_f32_e32 v7, v7
	v_cvt_i32_f32_e32 v8, v9
	s_mov_b32 s0, 0x7f800000
	v_cmp_neq_f32_e64 vcc, |v3|, s0
	s_mov_b32 s0, 0xc2ce8ed0
	v_cndmask_b32_e32 v3, 0, v4, vcc
	v_ldexp_f32 v4, v7, v8
	v_cmp_ngt_f32_e32 vcc, s0, v6
	v_add_f32_e32 v3, v5, v3
	v_cndmask_b32_e32 v4, 0, v4, vcc
	v_mov_b32_e32 v5, 0x7f800000
	v_cmp_nlt_f32_e32 vcc, s1, v6
	v_cndmask_b32_e32 v4, v5, v4, vcc
	v_fma_f32 v3, v4, v3, v4
	v_cmp_class_f32_e64 vcc, v4, s2
	v_cndmask_b32_e32 v3, v3, v4, vcc
	v_trunc_f32_e32 v4, v2
	v_cmp_eq_f32_e32 vcc, v4, v2
	v_mul_f32_e32 v4, 0.5, v2
	v_trunc_f32_e32 v7, v4
	v_cmp_neq_f32_e64 s[0:1], v7, v4
	s_and_b64 s[0:1], vcc, s[0:1]
	v_cndmask_b32_e64 v4, 1.0, v1, s[0:1]
	s_brev_b32 s7, -2
	v_mov_b32_e32 v6, 0x7fc00000
	v_bfi_b32 v3, s7, v3, v4
	v_cndmask_b32_e32 v4, v6, v3, vcc
	v_cmp_gt_f32_e32 vcc, 0, v1
	v_cndmask_b32_e32 v3, v3, v4, vcc
	v_cmp_class_f32_e64 s[20:21], v1, s2
	v_cmp_eq_f32_e32 vcc, 0, v1
	v_cmp_gt_f32_e64 s[2:3], 0, v2
	s_xor_b64 s[2:3], s[2:3], vcc
	v_cndmask_b32_e64 v2, v5, 0, s[2:3]
	v_cndmask_b32_e64 v4, 0, v1, s[0:1]
	v_bfi_b32 v2, s7, v2, v4
	s_or_b64 vcc, vcc, s[20:21]
	v_cndmask_b32_e32 v2, v3, v2, vcc
	v_cmp_o_f32_e32 vcc, v1, v1
	v_cndmask_b32_e32 v6, v6, v2, vcc
.LBB4_8:
	s_load_dwordx8 s[20:27], s[4:5], 0x0
	s_waitcnt lgkmcnt(0)
	s_cmp_lg_u64 s[24:25], 0
	s_cselect_b64 s[2:3], -1, 0
	s_cmp_eq_u64 s[24:25], 0
	s_cbranch_scc1 .LBB4_12
; %bb.9:
	s_lshl_b64 s[0:1], s[10:11], 2
	s_add_u32 s0, s24, s0
	s_addc_u32 s1, s25, s1
	s_load_dword s19, s[0:1], 0x0
	s_branch .LBB4_13
.LBB4_10:
                                        ; implicit-def: $sgpr28_sgpr29
	s_branch .LBB4_2
.LBB4_11:
                                        ; implicit-def: $sgpr30_sgpr31
	s_branch .LBB4_5
.LBB4_12:
	s_mov_b32 s19, 0xff800000
.LBB4_13:
	s_mul_i32 s0, s35, s8
	s_add_i32 s0, s0, s10
	s_mul_i32 s0, s0, s34
	s_add_i32 s4, s0, s6
	s_ashr_i32 s5, s4, 31
	s_lshl_b64 s[0:1], s[4:5], 14
	s_add_u32 s8, s20, s0
	s_addc_u32 s9, s21, s1
	v_lshlrev_b32_e32 v1, 2, v0
	global_load_dword v3, v1, s[8:9]
	s_mul_i32 s0, s13, s6
	s_mul_hi_u32 s1, s12, s6
	s_add_i32 s1, s1, s0
	s_mul_i32 s0, s12, s6
	s_mul_i32 s6, s28, s15
	s_mul_hi_u32 s7, s28, s14
	s_add_i32 s6, s7, s6
	s_mul_i32 s7, s29, s14
	s_add_i32 s6, s6, s7
	s_mul_i32 s7, s28, s14
	s_add_u32 s0, s7, s0
	s_addc_u32 s1, s6, s1
	s_mul_i32 s6, s30, s17
	s_mul_hi_u32 s7, s30, s16
	s_add_i32 s6, s7, s6
	s_mul_i32 s7, s31, s16
	s_add_i32 s6, s6, s7
	s_mul_i32 s7, s30, s16
	s_add_u32 s0, s0, s7
	s_addc_u32 s1, s1, s6
	s_lshr_b64 s[0:1], s[0:1], 1
	s_cmp_lg_u64 s[22:23], 0
	s_cselect_b64 s[12:13], -1, 0
	s_and_b64 vcc, s[12:13], exec
	s_cselect_b32 s1, s1, 0
	s_cselect_b32 s0, s0, 0
	s_lshl_b64 s[0:1], s[0:1], 1
	s_add_u32 s6, s22, s0
	s_addc_u32 s7, s23, s1
	v_mov_b32_e32 v7, 0
	v_lshlrev_b32_e32 v4, 1, v0
	v_mov_b32_e32 v8, 0
	s_cbranch_vccz .LBB4_15
; %bb.14:
	global_load_ushort v2, v4, s[6:7]
	s_waitcnt vmcnt(0)
	v_cvt_f32_f16_e32 v2, v2
	v_mul_f32_e32 v8, v6, v2
.LBB4_15:
	v_or_b32_e32 v2, 0x400, v0
	v_lshlrev_b32_e32 v2, 2, v2
	global_load_dword v5, v2, s[8:9]
	v_cndmask_b32_e64 v9, 0, 1, s[12:13]
	s_waitcnt vmcnt(1)
	v_fmac_f32_e32 v8, s18, v3
	v_lshl_add_u32 v3, v0, 2, 0
	v_cmp_ne_u32_e64 s[0:1], 1, v9
	s_andn2_b64 vcc, exec, s[12:13]
	ds_write_b32 v3, v8 offset:128
	s_cbranch_vccnz .LBB4_17
; %bb.16:
	global_load_ushort v4, v4, s[6:7] offset:2048
	s_waitcnt vmcnt(0)
	v_cvt_f32_f16_e32 v4, v4
	v_mul_f32_e32 v7, v6, v4
.LBB4_17:
	v_or_b32_e32 v12, 0x800, v0
	v_lshlrev_b32_e32 v4, 2, v12
	global_load_dword v10, v4, s[8:9]
	s_waitcnt vmcnt(1)
	v_fmac_f32_e32 v7, s18, v5
	v_mov_b32_e32 v11, 0
	s_and_b64 vcc, exec, s[0:1]
	v_mov_b32_e32 v9, 0
	ds_write_b32 v3, v7 offset:4224
	s_cbranch_vccnz .LBB4_19
; %bb.18:
	v_lshlrev_b32_e32 v5, 1, v12
	global_load_ushort v5, v5, s[6:7]
	s_waitcnt vmcnt(0)
	v_cvt_f32_f16_e32 v5, v5
	v_mul_f32_e32 v9, v6, v5
.LBB4_19:
	v_or_b32_e32 v13, 0xc00, v0
	v_lshlrev_b32_e32 v5, 2, v13
	global_load_dword v12, v5, s[8:9]
	s_waitcnt vmcnt(1)
	v_fmac_f32_e32 v9, s18, v10
	s_and_b64 vcc, exec, s[0:1]
	ds_write_b32 v3, v9 offset:8320
	s_cbranch_vccnz .LBB4_21
; %bb.20:
	v_lshlrev_b32_e32 v10, 1, v13
	global_load_ushort v10, v10, s[6:7]
	s_waitcnt vmcnt(0)
	v_cvt_f32_f16_e32 v10, v10
	v_mul_f32_e32 v11, v6, v10
.LBB4_21:
	s_waitcnt lgkmcnt(0)
	v_max3_f32 v6, s19, v8, v7
	s_waitcnt vmcnt(0)
	v_fmac_f32_e32 v11, s18, v12
	v_max3_f32 v7, v6, v9, v11
	v_mbcnt_lo_u32_b32 v6, -1, 0
	v_mbcnt_hi_u32_b32 v10, -1, v6
	v_and_b32_e32 v6, 0x60, v10
	v_add_u32_e32 v13, 32, v6
	v_xor_b32_e32 v6, 16, v10
	v_cmp_lt_i32_e32 vcc, v6, v13
	v_cndmask_b32_e32 v6, v10, v6, vcc
	v_lshlrev_b32_e32 v6, 2, v6
	ds_bpermute_b32 v8, v6, v7
	ds_write_b32 v3, v11 offset:12416
	v_and_b32_e32 v11, 31, v0
	v_lshrrev_b32_e32 v0, 3, v0
	s_waitcnt lgkmcnt(1)
	v_max_f32_e32 v8, v8, v8
	v_max_f32_e32 v8, v7, v8
	v_xor_b32_e32 v7, 8, v10
	v_cmp_lt_i32_e32 vcc, v7, v13
	v_cndmask_b32_e32 v7, v10, v7, vcc
	v_lshlrev_b32_e32 v7, 2, v7
	ds_bpermute_b32 v9, v7, v8
	s_waitcnt lgkmcnt(0)
	v_max_f32_e32 v9, v9, v9
	v_max_f32_e32 v9, v8, v9
	v_xor_b32_e32 v8, 4, v10
	v_cmp_lt_i32_e32 vcc, v8, v13
	v_cndmask_b32_e32 v8, v10, v8, vcc
	v_lshlrev_b32_e32 v8, 2, v8
	ds_bpermute_b32 v12, v8, v9
	s_waitcnt lgkmcnt(0)
	v_max_f32_e32 v12, v12, v12
	v_max_f32_e32 v12, v9, v12
	v_xor_b32_e32 v9, 2, v10
	v_cmp_lt_i32_e32 vcc, v9, v13
	v_cndmask_b32_e32 v9, v10, v9, vcc
	v_lshlrev_b32_e32 v9, 2, v9
	ds_bpermute_b32 v14, v9, v12
	s_waitcnt lgkmcnt(0)
	v_max_f32_e32 v14, v14, v14
	v_max_f32_e32 v12, v12, v14
	v_xor_b32_e32 v14, 1, v10
	v_cmp_lt_i32_e32 vcc, v14, v13
	v_cndmask_b32_e32 v10, v10, v14, vcc
	v_lshlrev_b32_e32 v10, 2, v10
	ds_bpermute_b32 v13, v10, v12
	v_cmp_eq_u32_e32 vcc, 0, v11
	s_and_saveexec_b64 s[0:1], vcc
	s_xor_b64 s[0:1], exec, s[0:1]
	s_cbranch_execz .LBB4_23
; %bb.22:
	s_waitcnt lgkmcnt(0)
	v_max_f32_e32 v13, v13, v13
	v_max_f32_e32 v12, v12, v12
	;; [unrolled: 1-line block ×3, first 2 shown]
	v_add_u32_e32 v13, 0, v0
	ds_write_b32 v13, v12
.LBB4_23:
	s_or_b64 exec, exec, s[0:1]
	v_lshl_add_u32 v11, v11, 2, 0
	s_waitcnt lgkmcnt(0)
	s_barrier
	ds_read_b32 v12, v11
	v_add_u32_e32 v15, 0x80, v3
	s_mov_b32 s6, 0x3fb8aa3b
	s_mov_b32 s7, 0xc2ce8ed0
	;; [unrolled: 1-line block ×3, first 2 shown]
	s_waitcnt lgkmcnt(0)
	ds_bpermute_b32 v13, v6, v12
	v_max_f32_e32 v12, v12, v12
	v_mov_b32_e32 v22, 0x7f800000
	s_waitcnt lgkmcnt(0)
	v_max_f32_e32 v13, v13, v13
	v_max_f32_e32 v12, v12, v13
	ds_bpermute_b32 v13, v7, v12
	s_waitcnt lgkmcnt(0)
	v_max_f32_e32 v13, v13, v13
	v_max_f32_e32 v12, v12, v13
	ds_bpermute_b32 v13, v8, v12
	;; [unrolled: 4-line block ×4, first 2 shown]
	ds_read2st64_b32 v[13:14], v15 offset1:16
	s_waitcnt lgkmcnt(1)
	v_max_f32_e32 v16, v16, v16
	v_max_f32_e32 v12, v12, v16
	s_waitcnt lgkmcnt(0)
	v_sub_f32_e32 v16, v13, v12
	v_sub_f32_e32 v17, v14, v12
	v_mul_f32_e32 v13, 0x3fb8aa3b, v16
	v_mul_f32_e32 v14, 0x3fb8aa3b, v17
	v_fma_f32 v18, v16, s6, -v13
	v_rndne_f32_e32 v19, v13
	v_fma_f32 v20, v17, s6, -v14
	v_rndne_f32_e32 v21, v14
	v_fmac_f32_e32 v18, 0x32a5705f, v16
	v_sub_f32_e32 v13, v13, v19
	v_fmac_f32_e32 v20, 0x32a5705f, v17
	v_sub_f32_e32 v14, v14, v21
	v_add_f32_e32 v13, v13, v18
	v_cvt_i32_f32_e32 v19, v19
	v_add_f32_e32 v14, v14, v20
	v_exp_f32_e32 v18, v13
	v_exp_f32_e32 v20, v14
	ds_read2st64_b32 v[13:14], v15 offset0:32 offset1:48
	v_cvt_i32_f32_e32 v21, v21
	v_ldexp_f32 v18, v18, v19
	v_cmp_ngt_f32_e64 s[0:1], s7, v16
	v_cndmask_b32_e64 v18, 0, v18, s[0:1]
	v_cmp_nlt_f32_e64 s[0:1], s8, v16
	v_ldexp_f32 v19, v20, v21
	v_cndmask_b32_e64 v16, v22, v18, s[0:1]
	v_cmp_ngt_f32_e64 s[0:1], s7, v17
	s_waitcnt lgkmcnt(0)
	v_sub_f32_e32 v13, v13, v12
	v_cndmask_b32_e64 v18, 0, v19, s[0:1]
	v_mul_f32_e32 v19, 0x3fb8aa3b, v13
	v_fma_f32 v20, v13, s6, -v19
	v_rndne_f32_e32 v21, v19
	v_fmac_f32_e32 v20, 0x32a5705f, v13
	v_sub_f32_e32 v19, v19, v21
	v_add_f32_e32 v19, v19, v20
	v_exp_f32_e32 v19, v19
	v_cvt_i32_f32_e32 v20, v21
	v_sub_f32_e32 v14, v14, v12
	v_cmp_nlt_f32_e64 s[0:1], s8, v17
	v_cndmask_b32_e64 v17, v22, v18, s[0:1]
	v_ldexp_f32 v19, v19, v20
	v_mul_f32_e32 v20, 0x3fb8aa3b, v14
	v_fma_f32 v21, v14, s6, -v20
	v_rndne_f32_e32 v23, v20
	v_fmac_f32_e32 v21, 0x32a5705f, v14
	v_sub_f32_e32 v20, v20, v23
	v_add_f32_e32 v20, v20, v21
	v_exp_f32_e32 v20, v20
	v_cvt_i32_f32_e32 v21, v23
	v_cmp_ngt_f32_e64 s[0:1], s7, v13
	v_cndmask_b32_e64 v19, 0, v19, s[0:1]
	v_cmp_nlt_f32_e64 s[0:1], s8, v13
	v_add_f32_e32 v18, v16, v17
	v_cndmask_b32_e64 v19, v22, v19, s[0:1]
	v_add_f32_e32 v13, v18, v19
	v_ldexp_f32 v18, v20, v21
	v_cmp_ngt_f32_e64 s[0:1], s7, v14
	v_cndmask_b32_e64 v18, 0, v18, s[0:1]
	v_cmp_nlt_f32_e64 s[0:1], s8, v14
	v_cndmask_b32_e64 v18, v22, v18, s[0:1]
	v_add_f32_e32 v13, v13, v18
	ds_bpermute_b32 v14, v6, v13
	ds_write2st64_b32 v15, v16, v17 offset1:16
	ds_write2st64_b32 v15, v19, v18 offset0:32 offset1:48
	s_waitcnt lgkmcnt(2)
	v_add_f32_e32 v13, v13, v14
	ds_bpermute_b32 v14, v7, v13
	s_waitcnt lgkmcnt(0)
	v_add_f32_e32 v13, v13, v14
	ds_bpermute_b32 v14, v8, v13
	;; [unrolled: 3-line block ×4, first 2 shown]
	s_and_saveexec_b64 s[0:1], vcc
	s_cbranch_execz .LBB4_25
; %bb.24:
	s_waitcnt lgkmcnt(0)
	v_add_f32_e32 v13, v13, v14
	v_add_u32_e32 v0, 0, v0
	ds_write_b32 v0, v13
.LBB4_25:
	s_or_b64 exec, exec, s[0:1]
	s_waitcnt lgkmcnt(0)
	s_barrier
	ds_read_b32 v0, v11
	s_lshl_b64 s[0:1], s[4:5], 12
	s_andn2_b64 vcc, exec, s[2:3]
	s_waitcnt lgkmcnt(0)
	ds_bpermute_b32 v6, v6, v0
	s_waitcnt lgkmcnt(0)
	v_add_f32_e32 v0, v0, v6
	ds_bpermute_b32 v6, v7, v0
	s_waitcnt lgkmcnt(0)
	v_add_f32_e32 v0, v0, v6
	;; [unrolled: 3-line block ×5, first 2 shown]
	s_cbranch_vccnz .LBB4_27
; %bb.26:
	s_lshl_b64 s[2:3], s[10:11], 2
	s_add_u32 s2, s24, s2
	s_addc_u32 s3, s25, s3
	s_load_dword s2, s[2:3], 0x0
	s_mov_b32 s3, 0x3fb8aa3b
	s_waitcnt lgkmcnt(0)
	v_sub_f32_e32 v6, s2, v12
	v_mul_f32_e32 v7, 0x3fb8aa3b, v6
	v_fma_f32 v8, v6, s3, -v7
	v_rndne_f32_e32 v9, v7
	v_fmac_f32_e32 v8, 0x32a5705f, v6
	v_sub_f32_e32 v7, v7, v9
	v_add_f32_e32 v7, v7, v8
	v_cvt_i32_f32_e32 v9, v9
	v_exp_f32_e32 v7, v7
	s_mov_b32 s2, 0xc2ce8ed0
	s_mov_b32 s3, 0x42b17218
	v_cmp_ngt_f32_e32 vcc, s2, v6
	v_ldexp_f32 v7, v7, v9
	v_cndmask_b32_e32 v7, 0, v7, vcc
	v_mov_b32_e32 v8, 0x7f800000
	v_cmp_nlt_f32_e32 vcc, s3, v6
	v_cndmask_b32_e32 v6, v8, v7, vcc
	v_add_f32_e32 v0, v0, v6
.LBB4_27:
	v_div_scale_f32 v6, s[2:3], v0, v0, 1.0
	v_div_scale_f32 v7, vcc, 1.0, v0, 1.0
	v_add_u32_e32 v3, 0x80, v3
	s_lshl_b64 s[0:1], s[0:1], 2
	s_add_u32 s0, s26, s0
	s_addc_u32 s1, s27, s1
	v_rcp_f32_e32 v8, v6
	v_fma_f32 v9, -v6, v8, 1.0
	v_fmac_f32_e32 v8, v9, v8
	v_mul_f32_e32 v9, v7, v8
	v_fma_f32 v10, -v6, v9, v7
	v_fmac_f32_e32 v9, v10, v8
	v_fma_f32 v6, -v6, v9, v7
	v_div_fmas_f32 v10, v6, v8, v9
	ds_read2st64_b32 v[6:7], v3 offset1:16
	ds_read2st64_b32 v[8:9], v3 offset0:32 offset1:48
	v_div_fixup_f32 v0, v10, v0, 1.0
	s_waitcnt lgkmcnt(1)
	v_mul_f32_e32 v3, v0, v6
	v_mul_f32_e32 v6, v0, v7
	s_waitcnt lgkmcnt(0)
	v_mul_f32_e32 v7, v0, v8
	v_mul_f32_e32 v0, v0, v9
	global_store_dword v1, v3, s[0:1]
	global_store_dword v2, v6, s[0:1]
	;; [unrolled: 1-line block ×4, first 2 shown]
	s_endpgm
	.section	.rodata,"a",@progbits
	.p2align	6, 0x0
	.amdhsa_kernel _ZL12soft_max_f32ILb1ELi4096ELi1024E6__halfEvPKfPKT2_S2_Pf15soft_max_params
		.amdhsa_group_segment_fixed_size 0
		.amdhsa_private_segment_fixed_size 0
		.amdhsa_kernarg_size 416
		.amdhsa_user_sgpr_count 6
		.amdhsa_user_sgpr_private_segment_buffer 1
		.amdhsa_user_sgpr_dispatch_ptr 0
		.amdhsa_user_sgpr_queue_ptr 0
		.amdhsa_user_sgpr_kernarg_segment_ptr 1
		.amdhsa_user_sgpr_dispatch_id 0
		.amdhsa_user_sgpr_flat_scratch_init 0
		.amdhsa_user_sgpr_private_segment_size 0
		.amdhsa_uses_dynamic_stack 0
		.amdhsa_system_sgpr_private_segment_wavefront_offset 0
		.amdhsa_system_sgpr_workgroup_id_x 1
		.amdhsa_system_sgpr_workgroup_id_y 1
		.amdhsa_system_sgpr_workgroup_id_z 1
		.amdhsa_system_sgpr_workgroup_info 0
		.amdhsa_system_vgpr_workitem_id 0
		.amdhsa_next_free_vgpr 24
		.amdhsa_next_free_sgpr 36
		.amdhsa_reserve_vcc 1
		.amdhsa_reserve_flat_scratch 0
		.amdhsa_float_round_mode_32 0
		.amdhsa_float_round_mode_16_64 0
		.amdhsa_float_denorm_mode_32 3
		.amdhsa_float_denorm_mode_16_64 3
		.amdhsa_dx10_clamp 1
		.amdhsa_ieee_mode 1
		.amdhsa_fp16_overflow 0
		.amdhsa_exception_fp_ieee_invalid_op 0
		.amdhsa_exception_fp_denorm_src 0
		.amdhsa_exception_fp_ieee_div_zero 0
		.amdhsa_exception_fp_ieee_overflow 0
		.amdhsa_exception_fp_ieee_underflow 0
		.amdhsa_exception_fp_ieee_inexact 0
		.amdhsa_exception_int_div_zero 0
	.end_amdhsa_kernel
	.section	.text._ZL12soft_max_f32ILb1ELi4096ELi1024E6__halfEvPKfPKT2_S2_Pf15soft_max_params,"axG",@progbits,_ZL12soft_max_f32ILb1ELi4096ELi1024E6__halfEvPKfPKT2_S2_Pf15soft_max_params,comdat
.Lfunc_end4:
	.size	_ZL12soft_max_f32ILb1ELi4096ELi1024E6__halfEvPKfPKT2_S2_Pf15soft_max_params, .Lfunc_end4-_ZL12soft_max_f32ILb1ELi4096ELi1024E6__halfEvPKfPKT2_S2_Pf15soft_max_params
                                        ; -- End function
	.set _ZL12soft_max_f32ILb1ELi4096ELi1024E6__halfEvPKfPKT2_S2_Pf15soft_max_params.num_vgpr, 24
	.set _ZL12soft_max_f32ILb1ELi4096ELi1024E6__halfEvPKfPKT2_S2_Pf15soft_max_params.num_agpr, 0
	.set _ZL12soft_max_f32ILb1ELi4096ELi1024E6__halfEvPKfPKT2_S2_Pf15soft_max_params.numbered_sgpr, 36
	.set _ZL12soft_max_f32ILb1ELi4096ELi1024E6__halfEvPKfPKT2_S2_Pf15soft_max_params.num_named_barrier, 0
	.set _ZL12soft_max_f32ILb1ELi4096ELi1024E6__halfEvPKfPKT2_S2_Pf15soft_max_params.private_seg_size, 0
	.set _ZL12soft_max_f32ILb1ELi4096ELi1024E6__halfEvPKfPKT2_S2_Pf15soft_max_params.uses_vcc, 1
	.set _ZL12soft_max_f32ILb1ELi4096ELi1024E6__halfEvPKfPKT2_S2_Pf15soft_max_params.uses_flat_scratch, 0
	.set _ZL12soft_max_f32ILb1ELi4096ELi1024E6__halfEvPKfPKT2_S2_Pf15soft_max_params.has_dyn_sized_stack, 0
	.set _ZL12soft_max_f32ILb1ELi4096ELi1024E6__halfEvPKfPKT2_S2_Pf15soft_max_params.has_recursion, 0
	.set _ZL12soft_max_f32ILb1ELi4096ELi1024E6__halfEvPKfPKT2_S2_Pf15soft_max_params.has_indirect_call, 0
	.section	.AMDGPU.csdata,"",@progbits
; Kernel info:
; codeLenInByte = 4148
; TotalNumSgprs: 40
; NumVgprs: 24
; ScratchSize: 0
; MemoryBound: 0
; FloatMode: 240
; IeeeMode: 1
; LDSByteSize: 0 bytes/workgroup (compile time only)
; SGPRBlocks: 4
; VGPRBlocks: 5
; NumSGPRsForWavesPerEU: 40
; NumVGPRsForWavesPerEU: 24
; Occupancy: 10
; WaveLimiterHint : 1
; COMPUTE_PGM_RSRC2:SCRATCH_EN: 0
; COMPUTE_PGM_RSRC2:USER_SGPR: 6
; COMPUTE_PGM_RSRC2:TRAP_HANDLER: 0
; COMPUTE_PGM_RSRC2:TGID_X_EN: 1
; COMPUTE_PGM_RSRC2:TGID_Y_EN: 1
; COMPUTE_PGM_RSRC2:TGID_Z_EN: 1
; COMPUTE_PGM_RSRC2:TIDIG_COMP_CNT: 0
	.section	.text._ZL12soft_max_f32ILb1ELi2048ELi1024E6__halfEvPKfPKT2_S2_Pf15soft_max_params,"axG",@progbits,_ZL12soft_max_f32ILb1ELi2048ELi1024E6__halfEvPKfPKT2_S2_Pf15soft_max_params,comdat
	.globl	_ZL12soft_max_f32ILb1ELi2048ELi1024E6__halfEvPKfPKT2_S2_Pf15soft_max_params ; -- Begin function _ZL12soft_max_f32ILb1ELi2048ELi1024E6__halfEvPKfPKT2_S2_Pf15soft_max_params
	.p2align	8
	.type	_ZL12soft_max_f32ILb1ELi2048ELi1024E6__halfEvPKfPKT2_S2_Pf15soft_max_params,@function
_ZL12soft_max_f32ILb1ELi2048ELi1024E6__halfEvPKfPKT2_S2_Pf15soft_max_params: ; @_ZL12soft_max_f32ILb1ELi2048ELi1024E6__halfEvPKfPKT2_S2_Pf15soft_max_params
; %bb.0:
	s_load_dwordx8 s[12:19], s[4:5], 0x68
	s_load_dwordx2 s[0:1], s[4:5], 0x88
	s_mov_b32 s11, 0
	s_mov_b32 s2, s11
	;; [unrolled: 1-line block ×3, first 2 shown]
	s_waitcnt lgkmcnt(0)
	s_mov_b32 s3, s19
	s_cmp_lg_u64 s[2:3], 0
	s_cbranch_scc0 .LBB5_10
; %bb.1:
	s_ashr_i32 s2, s19, 31
	s_add_u32 s20, s18, s2
	s_mov_b32 s3, s2
	s_addc_u32 s21, s19, s2
	s_xor_b64 s[20:21], s[20:21], s[2:3]
	v_cvt_f32_u32_e32 v1, s20
	v_cvt_f32_u32_e32 v2, s21
	s_sub_u32 s7, 0, s20
	s_subb_u32 s9, 0, s21
	v_madmk_f32 v1, v2, 0x4f800000, v1
	v_rcp_f32_e32 v1, v1
	v_mul_f32_e32 v1, 0x5f7ffffc, v1
	v_mul_f32_e32 v2, 0x2f800000, v1
	v_trunc_f32_e32 v2, v2
	v_madmk_f32 v1, v2, 0xcf800000, v1
	v_cvt_u32_f32_e32 v2, v2
	v_cvt_u32_f32_e32 v1, v1
	v_readfirstlane_b32 s19, v2
	v_readfirstlane_b32 s22, v1
	s_mul_i32 s23, s7, s19
	s_mul_hi_u32 s25, s7, s22
	s_mul_i32 s24, s9, s22
	s_add_i32 s23, s25, s23
	s_add_i32 s23, s23, s24
	s_mul_i32 s26, s7, s22
	s_mul_i32 s25, s22, s23
	s_mul_hi_u32 s27, s22, s26
	s_mul_hi_u32 s24, s22, s23
	s_add_u32 s25, s27, s25
	s_addc_u32 s24, 0, s24
	s_mul_hi_u32 s28, s19, s26
	s_mul_i32 s26, s19, s26
	s_add_u32 s25, s25, s26
	s_mul_hi_u32 s27, s19, s23
	s_addc_u32 s24, s24, s28
	s_addc_u32 s25, s27, 0
	s_mul_i32 s23, s19, s23
	s_add_u32 s23, s24, s23
	s_addc_u32 s24, 0, s25
	s_add_u32 s25, s22, s23
	s_cselect_b64 s[22:23], -1, 0
	s_cmp_lg_u64 s[22:23], 0
	s_addc_u32 s19, s19, s24
	s_mul_i32 s22, s7, s19
	s_mul_hi_u32 s23, s7, s25
	s_add_i32 s22, s23, s22
	s_mul_i32 s9, s9, s25
	s_add_i32 s22, s22, s9
	s_mul_i32 s7, s7, s25
	s_mul_hi_u32 s23, s19, s7
	s_mul_i32 s24, s19, s7
	s_mul_i32 s27, s25, s22
	s_mul_hi_u32 s7, s25, s7
	s_mul_hi_u32 s26, s25, s22
	s_add_u32 s7, s7, s27
	s_addc_u32 s26, 0, s26
	s_add_u32 s7, s7, s24
	s_mul_hi_u32 s9, s19, s22
	s_addc_u32 s7, s26, s23
	s_addc_u32 s9, s9, 0
	s_mul_i32 s22, s19, s22
	s_add_u32 s7, s7, s22
	s_addc_u32 s9, 0, s9
	s_add_u32 s7, s25, s7
	s_cselect_b64 s[22:23], -1, 0
	s_cmp_lg_u64 s[22:23], 0
	s_addc_u32 s9, s19, s9
	s_add_u32 s22, s10, 0
	s_addc_u32 s23, 0, 0
	s_xor_b64 s[22:23], s[22:23], 0
	s_mul_i32 s24, s22, s9
	s_mul_hi_u32 s25, s22, s7
	s_mul_hi_u32 s19, s22, s9
	s_add_u32 s24, s25, s24
	s_addc_u32 s19, 0, s19
	s_mul_hi_u32 s26, s23, s7
	s_mul_i32 s7, s23, s7
	s_add_u32 s7, s24, s7
	s_mul_hi_u32 s25, s23, s9
	s_addc_u32 s7, s19, s26
	s_addc_u32 s19, s25, 0
	s_mul_i32 s9, s23, s9
	s_add_u32 s7, s7, s9
	s_addc_u32 s9, 0, s19
	s_mul_i32 s9, s20, s9
	s_mul_hi_u32 s19, s20, s7
	s_add_i32 s9, s19, s9
	s_mul_i32 s19, s21, s7
	s_add_i32 s9, s9, s19
	s_sub_i32 s19, s23, s9
	s_mul_i32 s7, s20, s7
	s_sub_u32 s7, s22, s7
	s_cselect_b64 s[24:25], -1, 0
	s_cmp_lg_u64 s[24:25], 0
	s_subb_u32 s19, s19, s21
	s_sub_u32 s22, s7, s20
	s_cselect_b64 s[26:27], -1, 0
	s_cmp_lg_u64 s[26:27], 0
	s_subb_u32 s28, s19, 0
	s_cmp_ge_u32 s28, s21
	s_cselect_b32 s29, -1, 0
	s_cmp_ge_u32 s22, s20
	s_cselect_b32 s30, -1, 0
	s_cmp_eq_u32 s28, s21
	s_cselect_b32 s29, s30, s29
	s_cmp_lg_u64 s[26:27], 0
	s_subb_u32 s19, s19, s21
	s_sub_u32 s30, s22, s20
	s_cselect_b64 s[26:27], -1, 0
	s_cmp_lg_u64 s[26:27], 0
	s_subb_u32 s19, s19, 0
	s_cmp_lg_u32 s29, 0
	s_cselect_b32 s22, s30, s22
	s_cselect_b32 s19, s19, s28
	s_cmp_lg_u64 s[24:25], 0
	s_subb_u32 s9, s23, s9
	s_cmp_ge_u32 s9, s21
	s_cselect_b32 s23, -1, 0
	s_cmp_ge_u32 s7, s20
	s_cselect_b32 s20, -1, 0
	s_cmp_eq_u32 s9, s21
	s_cselect_b32 s20, s20, s23
	s_cmp_lg_u32 s20, 0
	s_cselect_b32 s21, s19, s9
	s_cselect_b32 s20, s22, s7
	s_xor_b64 s[20:21], s[20:21], 0
	s_sub_u32 s28, s20, 0
	s_subb_u32 s29, s21, 0
	s_cbranch_execnz .LBB5_3
.LBB5_2:
	v_cvt_f32_u32_e32 v1, s18
	s_sub_i32 s2, 0, s18
	s_mov_b32 s29, 0
	v_rcp_iflag_f32_e32 v1, v1
	v_mul_f32_e32 v1, 0x4f7ffffe, v1
	v_cvt_u32_f32_e32 v1, v1
	v_readfirstlane_b32 s3, v1
	s_mul_i32 s2, s2, s3
	s_mul_hi_u32 s2, s3, s2
	s_add_i32 s3, s3, s2
	s_mul_hi_u32 s2, s10, s3
	s_mul_i32 s2, s2, s18
	s_sub_i32 s2, s10, s2
	s_sub_i32 s3, s2, s18
	s_cmp_ge_u32 s2, s18
	s_cselect_b32 s2, s3, s2
	s_sub_i32 s3, s2, s18
	s_cmp_ge_u32 s2, s18
	s_cselect_b32 s28, s3, s2
.LBB5_3:
	s_load_dwordx2 s[18:19], s[4:5], 0x90
	s_mov_b32 s2, 0
	s_mov_b32 s3, s1
	s_cmp_lg_u64 s[2:3], 0
	s_cbranch_scc0 .LBB5_11
; %bb.4:
	s_ashr_i32 s2, s1, 31
	s_add_u32 s20, s0, s2
	s_mov_b32 s3, s2
	s_addc_u32 s21, s1, s2
	s_xor_b64 s[20:21], s[20:21], s[2:3]
	v_cvt_f32_u32_e32 v1, s20
	v_cvt_f32_u32_e32 v2, s21
	s_sub_u32 s1, 0, s20
	s_subb_u32 s7, 0, s21
	v_madmk_f32 v1, v2, 0x4f800000, v1
	v_rcp_f32_e32 v1, v1
	v_mul_f32_e32 v1, 0x5f7ffffc, v1
	v_mul_f32_e32 v2, 0x2f800000, v1
	v_trunc_f32_e32 v2, v2
	v_madmk_f32 v1, v2, 0xcf800000, v1
	v_cvt_u32_f32_e32 v2, v2
	v_cvt_u32_f32_e32 v1, v1
	v_readfirstlane_b32 s9, v2
	v_readfirstlane_b32 s22, v1
	s_mul_i32 s23, s1, s9
	s_mul_hi_u32 s25, s1, s22
	s_mul_i32 s24, s7, s22
	s_add_i32 s23, s25, s23
	s_add_i32 s23, s23, s24
	s_mul_i32 s26, s1, s22
	s_mul_i32 s25, s22, s23
	s_mul_hi_u32 s27, s22, s26
	s_mul_hi_u32 s24, s22, s23
	s_add_u32 s25, s27, s25
	s_addc_u32 s24, 0, s24
	s_mul_hi_u32 s30, s9, s26
	s_mul_i32 s26, s9, s26
	s_add_u32 s25, s25, s26
	s_mul_hi_u32 s27, s9, s23
	s_addc_u32 s24, s24, s30
	s_addc_u32 s25, s27, 0
	s_mul_i32 s23, s9, s23
	s_add_u32 s23, s24, s23
	s_addc_u32 s24, 0, s25
	s_add_u32 s25, s22, s23
	s_cselect_b64 s[22:23], -1, 0
	s_cmp_lg_u64 s[22:23], 0
	s_addc_u32 s9, s9, s24
	s_mul_i32 s22, s1, s9
	s_mul_hi_u32 s23, s1, s25
	s_add_i32 s22, s23, s22
	s_mul_i32 s7, s7, s25
	s_add_i32 s22, s22, s7
	s_mul_i32 s1, s1, s25
	s_mul_hi_u32 s23, s9, s1
	s_mul_i32 s24, s9, s1
	s_mul_i32 s27, s25, s22
	s_mul_hi_u32 s1, s25, s1
	s_mul_hi_u32 s26, s25, s22
	s_add_u32 s1, s1, s27
	s_addc_u32 s26, 0, s26
	s_add_u32 s1, s1, s24
	s_mul_hi_u32 s7, s9, s22
	s_addc_u32 s1, s26, s23
	s_addc_u32 s7, s7, 0
	s_mul_i32 s22, s9, s22
	s_add_u32 s1, s1, s22
	s_addc_u32 s7, 0, s7
	s_add_u32 s1, s25, s1
	s_cselect_b64 s[22:23], -1, 0
	s_cmp_lg_u64 s[22:23], 0
	s_addc_u32 s7, s9, s7
	s_add_u32 s22, s8, 0
	s_addc_u32 s23, 0, 0
	s_xor_b64 s[22:23], s[22:23], 0
	s_mul_i32 s24, s22, s7
	s_mul_hi_u32 s25, s22, s1
	s_mul_hi_u32 s9, s22, s7
	s_add_u32 s24, s25, s24
	s_addc_u32 s9, 0, s9
	s_mul_hi_u32 s26, s23, s1
	s_mul_i32 s1, s23, s1
	s_add_u32 s1, s24, s1
	s_mul_hi_u32 s25, s23, s7
	s_addc_u32 s1, s9, s26
	s_addc_u32 s9, s25, 0
	s_mul_i32 s7, s23, s7
	s_add_u32 s1, s1, s7
	s_addc_u32 s7, 0, s9
	s_mul_i32 s7, s20, s7
	s_mul_hi_u32 s9, s20, s1
	s_add_i32 s7, s9, s7
	s_mul_i32 s9, s21, s1
	s_add_i32 s7, s7, s9
	s_sub_i32 s9, s23, s7
	s_mul_i32 s1, s20, s1
	s_sub_u32 s1, s22, s1
	s_cselect_b64 s[24:25], -1, 0
	s_cmp_lg_u64 s[24:25], 0
	s_subb_u32 s9, s9, s21
	s_sub_u32 s22, s1, s20
	s_cselect_b64 s[26:27], -1, 0
	s_cmp_lg_u64 s[26:27], 0
	s_subb_u32 s30, s9, 0
	s_cmp_ge_u32 s30, s21
	s_cselect_b32 s31, -1, 0
	s_cmp_ge_u32 s22, s20
	s_cselect_b32 s33, -1, 0
	s_cmp_eq_u32 s30, s21
	s_cselect_b32 s31, s33, s31
	s_cmp_lg_u64 s[26:27], 0
	s_subb_u32 s9, s9, s21
	s_sub_u32 s33, s22, s20
	s_cselect_b64 s[26:27], -1, 0
	s_cmp_lg_u64 s[26:27], 0
	s_subb_u32 s9, s9, 0
	s_cmp_lg_u32 s31, 0
	s_cselect_b32 s22, s33, s22
	s_cselect_b32 s9, s9, s30
	s_cmp_lg_u64 s[24:25], 0
	s_subb_u32 s7, s23, s7
	s_cmp_ge_u32 s7, s21
	s_cselect_b32 s23, -1, 0
	s_cmp_ge_u32 s1, s20
	s_cselect_b32 s20, -1, 0
	s_cmp_eq_u32 s7, s21
	s_cselect_b32 s20, s20, s23
	s_cmp_lg_u32 s20, 0
	s_cselect_b32 s21, s9, s7
	s_cselect_b32 s20, s22, s1
	s_xor_b64 s[20:21], s[20:21], 0
	s_sub_u32 s30, s20, 0
	s_subb_u32 s31, s21, 0
	s_cbranch_execnz .LBB5_6
.LBB5_5:
	v_cvt_f32_u32_e32 v1, s0
	s_sub_i32 s1, 0, s0
	s_mov_b32 s31, 0
	v_rcp_iflag_f32_e32 v1, v1
	v_mul_f32_e32 v1, 0x4f7ffffe, v1
	v_cvt_u32_f32_e32 v1, v1
	v_readfirstlane_b32 s2, v1
	s_mul_i32 s1, s1, s2
	s_mul_hi_u32 s1, s2, s1
	s_add_i32 s2, s2, s1
	s_mul_hi_u32 s1, s8, s2
	s_mul_i32 s1, s1, s0
	s_sub_i32 s1, s8, s1
	s_sub_i32 s2, s1, s0
	s_cmp_ge_u32 s1, s0
	s_cselect_b32 s1, s2, s1
	s_sub_i32 s2, s1, s0
	s_cmp_ge_u32 s1, s0
	s_cselect_b32 s30, s2, s1
.LBB5_6:
	s_load_dwordx2 s[34:35], s[4:5], 0xa0
	s_waitcnt lgkmcnt(0)
	v_cmp_le_f32_e64 s[0:1], s19, 0
	s_and_b64 vcc, exec, s[0:1]
	v_mov_b32_e32 v4, 1.0
	s_cbranch_vccnz .LBB5_8
; %bb.7:
	s_load_dword s2, s[4:5], 0x28
	s_load_dwordx2 s[0:1], s[4:5], 0x98
	s_add_i32 s3, s10, 1
	s_waitcnt lgkmcnt(0)
	s_sub_i32 s7, s10, s2
	v_mov_b32_e32 v2, s0
	s_lshl_b32 s0, s7, 1
	s_or_b32 s7, s0, 1
	s_cmp_lt_u32 s10, s2
	s_cselect_b64 vcc, -1, 0
	v_mov_b32_e32 v1, s1
	s_and_b64 s[0:1], vcc, exec
	s_cselect_b32 s0, s3, s7
	v_cndmask_b32_e32 v1, v1, v2, vcc
	v_cvt_f32_i32_e32 v2, s0
	v_cmp_neq_f32_e32 vcc, 1.0, v1
	s_mov_b32 s0, 0x3f2aaaab
	s_movk_i32 s2, 0x204
	v_cndmask_b32_e32 v2, 1.0, v2, vcc
	v_cmp_neq_f32_e32 vcc, 0, v2
	v_cndmask_b32_e32 v1, 1.0, v1, vcc
	v_frexp_mant_f32_e64 v3, |v1|
	v_cmp_gt_f32_e32 vcc, s0, v3
	v_cndmask_b32_e64 v4, 1.0, 2.0, vcc
	v_mul_f32_e32 v3, v3, v4
	v_add_f32_e32 v4, 1.0, v3
	v_rcp_f32_e32 v5, v4
	v_add_f32_e32 v6, -1.0, v3
	v_add_f32_e32 v7, -1.0, v4
	v_sub_f32_e32 v3, v3, v7
	v_mul_f32_e32 v7, v6, v5
	v_mul_f32_e32 v8, v4, v7
	v_fma_f32 v4, v7, v4, -v8
	v_fmac_f32_e32 v4, v7, v3
	v_add_f32_e32 v3, v8, v4
	v_sub_f32_e32 v9, v6, v3
	v_sub_f32_e32 v8, v3, v8
	;; [unrolled: 1-line block ×5, first 2 shown]
	v_add_f32_e32 v3, v4, v3
	v_add_f32_e32 v3, v9, v3
	v_mul_f32_e32 v3, v5, v3
	v_add_f32_e32 v5, v7, v3
	v_sub_f32_e32 v4, v5, v7
	v_sub_f32_e32 v6, v3, v4
	v_mul_f32_e32 v3, v5, v5
	v_fma_f32 v4, v5, v5, -v3
	v_add_f32_e32 v7, v6, v6
	v_fmac_f32_e32 v4, v5, v7
	v_add_f32_e32 v7, v3, v4
	v_mov_b32_e32 v8, 0x3e91f4c4
	v_sub_f32_e32 v3, v7, v3
	v_fmac_f32_e32 v8, 0x3e76c4e1, v7
	v_mov_b32_e32 v9, 0x3ecccdef
	v_sub_f32_e32 v3, v4, v3
	v_mul_f32_e32 v4, v5, v7
	v_fmac_f32_e32 v9, v7, v8
	v_fma_f32 v8, v7, v5, -v4
	v_fmac_f32_e32 v8, v7, v6
	v_fmac_f32_e32 v8, v3, v5
	v_add_f32_e32 v10, v4, v8
	v_sub_f32_e32 v4, v10, v4
	v_sub_f32_e32 v8, v8, v4
	v_mul_f32_e32 v4, v7, v9
	v_fma_f32 v7, v7, v9, -v4
	v_fmac_f32_e32 v7, v3, v9
	v_add_f32_e32 v9, v4, v7
	v_sub_f32_e32 v3, v9, v4
	v_sub_f32_e32 v7, v7, v3
	v_cvt_f64_f32_e64 v[3:4], |v1|
	v_add_f32_e32 v11, 0x3f2aaaaa, v9
	v_add_f32_e32 v12, 0xbf2aaaaa, v11
	;; [unrolled: 1-line block ×3, first 2 shown]
	v_frexp_exp_i32_f64_e32 v3, v[3:4]
	v_sub_f32_e32 v9, v9, v12
	v_add_f32_e32 v4, v7, v9
	v_add_f32_e32 v7, v11, v4
	v_sub_f32_e32 v9, v11, v7
	v_add_f32_e32 v4, v4, v9
	v_mul_f32_e32 v9, v10, v7
	v_fma_f32 v11, v10, v7, -v9
	v_subbrev_co_u32_e32 v3, vcc, 0, v3, vcc
	v_cvt_f32_i32_e32 v3, v3
	v_fmac_f32_e32 v11, v10, v4
	s_mov_b32 s0, 0x3f317218
	v_fmac_f32_e32 v11, v8, v7
	v_mul_f32_e32 v4, 0x3f317218, v3
	v_fma_f32 v7, v3, s0, -v4
	v_fmac_f32_e32 v7, 0xb102e308, v3
	v_ldexp_f32 v3, v6, 1
	v_add_f32_e32 v6, v4, v7
	v_sub_f32_e32 v4, v6, v4
	v_ldexp_f32 v5, v5, 1
	v_sub_f32_e32 v4, v7, v4
	v_add_f32_e32 v7, v9, v11
	v_sub_f32_e32 v8, v7, v9
	v_add_f32_e32 v9, v5, v7
	v_sub_f32_e32 v8, v11, v8
	v_sub_f32_e32 v5, v9, v5
	;; [unrolled: 1-line block ×3, first 2 shown]
	v_add_f32_e32 v3, v3, v8
	v_add_f32_e32 v3, v3, v5
	;; [unrolled: 1-line block ×3, first 2 shown]
	v_sub_f32_e32 v7, v5, v9
	v_sub_f32_e32 v3, v3, v7
	v_add_f32_e32 v7, v6, v5
	v_sub_f32_e32 v8, v7, v6
	v_sub_f32_e32 v9, v7, v8
	;; [unrolled: 1-line block ×4, first 2 shown]
	v_add_f32_e32 v5, v5, v6
	v_add_f32_e32 v6, v4, v3
	v_sub_f32_e32 v8, v6, v4
	v_sub_f32_e32 v9, v6, v8
	;; [unrolled: 1-line block ×4, first 2 shown]
	v_add_f32_e32 v3, v3, v4
	v_add_f32_e32 v4, v6, v5
	;; [unrolled: 1-line block ×3, first 2 shown]
	v_sub_f32_e32 v6, v5, v7
	v_sub_f32_e32 v4, v4, v6
	v_add_f32_e32 v3, v3, v4
	v_add_f32_e32 v4, v5, v3
	v_sub_f32_e32 v5, v4, v5
	v_sub_f32_e32 v3, v3, v5
	v_mul_f32_e32 v5, v2, v4
	v_fma_f32 v4, v2, v4, -v5
	v_fmac_f32_e32 v4, v2, v3
	v_add_f32_e32 v3, v5, v4
	v_cmp_class_f32_e64 vcc, v5, s2
	v_sub_f32_e32 v6, v3, v5
	v_cndmask_b32_e32 v3, v3, v5, vcc
	s_mov_b32 s1, 0x42b17218
	v_mov_b32_e32 v5, 0x37000000
	v_cmp_eq_f32_e32 vcc, s1, v3
	v_cndmask_b32_e32 v5, 0, v5, vcc
	v_sub_f32_e32 v4, v4, v6
	v_sub_f32_e32 v6, v3, v5
	s_mov_b32 s3, 0x3fb8aa3b
	v_mul_f32_e32 v7, 0x3fb8aa3b, v6
	v_fma_f32 v8, v6, s3, -v7
	v_rndne_f32_e32 v9, v7
	v_fmac_f32_e32 v8, 0x32a5705f, v6
	v_sub_f32_e32 v7, v7, v9
	v_add_f32_e32 v7, v7, v8
	v_exp_f32_e32 v7, v7
	v_cvt_i32_f32_e32 v8, v9
	s_mov_b32 s0, 0x7f800000
	v_cmp_neq_f32_e64 vcc, |v3|, s0
	s_mov_b32 s0, 0xc2ce8ed0
	v_cndmask_b32_e32 v3, 0, v4, vcc
	v_ldexp_f32 v4, v7, v8
	v_cmp_ngt_f32_e32 vcc, s0, v6
	v_add_f32_e32 v3, v5, v3
	v_cndmask_b32_e32 v4, 0, v4, vcc
	v_mov_b32_e32 v5, 0x7f800000
	v_cmp_nlt_f32_e32 vcc, s1, v6
	v_cndmask_b32_e32 v4, v5, v4, vcc
	v_fma_f32 v3, v4, v3, v4
	v_cmp_class_f32_e64 vcc, v4, s2
	v_cndmask_b32_e32 v3, v3, v4, vcc
	v_trunc_f32_e32 v4, v2
	v_cmp_eq_f32_e32 vcc, v4, v2
	v_mul_f32_e32 v4, 0.5, v2
	v_trunc_f32_e32 v7, v4
	v_cmp_neq_f32_e64 s[0:1], v7, v4
	s_and_b64 s[0:1], vcc, s[0:1]
	v_cndmask_b32_e64 v4, 1.0, v1, s[0:1]
	s_brev_b32 s7, -2
	v_mov_b32_e32 v6, 0x7fc00000
	v_bfi_b32 v3, s7, v3, v4
	v_cndmask_b32_e32 v4, v6, v3, vcc
	v_cmp_gt_f32_e32 vcc, 0, v1
	v_cndmask_b32_e32 v3, v3, v4, vcc
	v_cmp_class_f32_e64 s[20:21], v1, s2
	v_cmp_eq_f32_e32 vcc, 0, v1
	v_cmp_gt_f32_e64 s[2:3], 0, v2
	s_xor_b64 s[2:3], s[2:3], vcc
	v_cndmask_b32_e64 v2, v5, 0, s[2:3]
	v_cndmask_b32_e64 v4, 0, v1, s[0:1]
	v_bfi_b32 v2, s7, v2, v4
	s_or_b64 vcc, vcc, s[20:21]
	v_cndmask_b32_e32 v2, v3, v2, vcc
	v_cmp_o_f32_e32 vcc, v1, v1
	v_cndmask_b32_e32 v4, v6, v2, vcc
.LBB5_8:
	s_load_dwordx8 s[20:27], s[4:5], 0x0
	s_waitcnt lgkmcnt(0)
	s_cmp_lg_u64 s[24:25], 0
	s_cselect_b64 s[2:3], -1, 0
	s_cmp_eq_u64 s[24:25], 0
	s_cbranch_scc1 .LBB5_12
; %bb.9:
	s_lshl_b64 s[0:1], s[10:11], 2
	s_add_u32 s0, s24, s0
	s_addc_u32 s1, s25, s1
	s_load_dword s19, s[0:1], 0x0
	s_branch .LBB5_13
.LBB5_10:
                                        ; implicit-def: $sgpr28_sgpr29
	s_branch .LBB5_2
.LBB5_11:
                                        ; implicit-def: $sgpr30_sgpr31
	s_branch .LBB5_5
.LBB5_12:
	s_mov_b32 s19, 0xff800000
.LBB5_13:
	s_mul_i32 s0, s35, s8
	s_add_i32 s0, s0, s10
	s_mul_i32 s0, s0, s34
	s_add_i32 s4, s0, s6
	s_ashr_i32 s5, s4, 31
	s_lshl_b64 s[0:1], s[4:5], 13
	s_add_u32 s0, s20, s0
	s_addc_u32 s1, s21, s1
	v_lshlrev_b32_e32 v1, 2, v0
	global_load_dword v3, v1, s[0:1]
	s_mul_i32 s7, s13, s6
	s_mul_hi_u32 s8, s12, s6
	s_add_i32 s8, s8, s7
	s_mul_i32 s7, s28, s15
	s_mul_hi_u32 s9, s28, s14
	s_add_i32 s7, s9, s7
	s_mul_i32 s9, s29, s14
	s_mul_i32 s6, s12, s6
	s_add_i32 s7, s7, s9
	s_mul_i32 s9, s28, s14
	s_add_u32 s6, s9, s6
	s_addc_u32 s7, s7, s8
	s_mul_i32 s8, s30, s17
	s_mul_hi_u32 s9, s30, s16
	s_add_i32 s8, s9, s8
	s_mul_i32 s9, s31, s16
	s_add_i32 s8, s8, s9
	s_mul_i32 s9, s30, s16
	s_add_u32 s6, s6, s9
	s_addc_u32 s7, s7, s8
	s_lshr_b64 s[6:7], s[6:7], 1
	s_cmp_lg_u64 s[22:23], 0
	s_cselect_b64 s[8:9], -1, 0
	s_and_b64 vcc, s[8:9], exec
	s_cselect_b32 s7, s7, 0
	s_cselect_b32 s6, s6, 0
	s_lshl_b64 s[6:7], s[6:7], 1
	s_add_u32 s6, s22, s6
	s_addc_u32 s7, s23, s7
	v_mov_b32_e32 v9, 0
	v_lshlrev_b32_e32 v6, 1, v0
	v_mov_b32_e32 v5, 0
	s_cbranch_vccz .LBB5_15
; %bb.14:
	global_load_ushort v2, v6, s[6:7]
	s_waitcnt vmcnt(0)
	v_cvt_f32_f16_e32 v2, v2
	v_mul_f32_e32 v5, v4, v2
.LBB5_15:
	v_or_b32_e32 v2, 0x400, v0
	v_lshlrev_b32_e32 v2, 2, v2
	global_load_dword v7, v2, s[0:1]
	s_waitcnt vmcnt(1)
	v_fmac_f32_e32 v5, s18, v3
	v_lshl_add_u32 v3, v0, 2, 0
	s_andn2_b64 vcc, exec, s[8:9]
	ds_write_b32 v3, v5 offset:128
	s_cbranch_vccnz .LBB5_17
; %bb.16:
	global_load_ushort v6, v6, s[6:7] offset:2048
	s_waitcnt vmcnt(0)
	v_cvt_f32_f16_e32 v6, v6
	v_mul_f32_e32 v9, v4, v6
.LBB5_17:
	v_mbcnt_lo_u32_b32 v4, -1, 0
	v_mbcnt_hi_u32_b32 v8, -1, v4
	v_and_b32_e32 v4, 0x60, v8
	v_add_u32_e32 v11, 32, v4
	v_xor_b32_e32 v4, 16, v8
	v_cmp_lt_i32_e32 vcc, v4, v11
	s_waitcnt vmcnt(0)
	v_fmac_f32_e32 v9, s18, v7
	v_cndmask_b32_e32 v4, v8, v4, vcc
	s_waitcnt lgkmcnt(0)
	v_max3_f32 v5, s19, v5, v9
	v_lshlrev_b32_e32 v4, 2, v4
	ds_bpermute_b32 v6, v4, v5
	ds_write_b32 v3, v9 offset:4224
	v_and_b32_e32 v9, 31, v0
	v_lshrrev_b32_e32 v0, 3, v0
	s_waitcnt lgkmcnt(1)
	v_max_f32_e32 v6, v6, v6
	v_max_f32_e32 v6, v5, v6
	v_xor_b32_e32 v5, 8, v8
	v_cmp_lt_i32_e32 vcc, v5, v11
	v_cndmask_b32_e32 v5, v8, v5, vcc
	v_lshlrev_b32_e32 v5, 2, v5
	ds_bpermute_b32 v7, v5, v6
	s_waitcnt lgkmcnt(0)
	v_max_f32_e32 v7, v7, v7
	v_max_f32_e32 v7, v6, v7
	v_xor_b32_e32 v6, 4, v8
	v_cmp_lt_i32_e32 vcc, v6, v11
	v_cndmask_b32_e32 v6, v8, v6, vcc
	v_lshlrev_b32_e32 v6, 2, v6
	ds_bpermute_b32 v10, v6, v7
	;; [unrolled: 8-line block ×4, first 2 shown]
	v_cmp_eq_u32_e32 vcc, 0, v9
	s_and_saveexec_b64 s[0:1], vcc
	s_xor_b64 s[0:1], exec, s[0:1]
	s_cbranch_execz .LBB5_19
; %bb.18:
	s_waitcnt lgkmcnt(0)
	v_max_f32_e32 v11, v11, v11
	v_max_f32_e32 v10, v10, v10
	;; [unrolled: 1-line block ×3, first 2 shown]
	v_add_u32_e32 v11, 0, v0
	ds_write_b32 v11, v10
.LBB5_19:
	s_or_b64 exec, exec, s[0:1]
	v_lshl_add_u32 v9, v9, 2, 0
	s_waitcnt lgkmcnt(0)
	s_barrier
	ds_read_b32 v10, v9
	v_add_u32_e32 v14, 0x80, v3
	s_mov_b32 s0, 0x3fb8aa3b
	s_mov_b32 s6, 0xc2ce8ed0
	s_mov_b32 s7, 0x42b17218
	s_waitcnt lgkmcnt(0)
	ds_bpermute_b32 v11, v4, v10
	v_max_f32_e32 v10, v10, v10
	s_waitcnt lgkmcnt(0)
	v_max_f32_e32 v11, v11, v11
	v_max_f32_e32 v10, v10, v11
	ds_bpermute_b32 v11, v5, v10
	s_waitcnt lgkmcnt(0)
	v_max_f32_e32 v11, v11, v11
	v_max_f32_e32 v10, v10, v11
	ds_bpermute_b32 v11, v6, v10
	;; [unrolled: 4-line block ×4, first 2 shown]
	ds_read2st64_b32 v[11:12], v14 offset1:16
	s_waitcnt lgkmcnt(1)
	v_max_f32_e32 v13, v13, v13
	v_max_f32_e32 v10, v10, v13
	s_waitcnt lgkmcnt(0)
	v_sub_f32_e32 v11, v11, v10
	v_sub_f32_e32 v12, v12, v10
	v_mul_f32_e32 v13, 0x3fb8aa3b, v11
	v_mul_f32_e32 v15, 0x3fb8aa3b, v12
	v_fma_f32 v16, v11, s0, -v13
	v_rndne_f32_e32 v17, v13
	v_fma_f32 v18, v12, s0, -v15
	v_rndne_f32_e32 v19, v15
	v_fmac_f32_e32 v16, 0x32a5705f, v11
	v_sub_f32_e32 v13, v13, v17
	v_fmac_f32_e32 v18, 0x32a5705f, v12
	v_sub_f32_e32 v15, v15, v19
	v_add_f32_e32 v13, v13, v16
	v_cvt_i32_f32_e32 v17, v17
	v_add_f32_e32 v15, v15, v18
	v_exp_f32_e32 v13, v13
	v_cvt_i32_f32_e32 v19, v19
	v_exp_f32_e32 v15, v15
	v_cmp_ngt_f32_e64 s[0:1], s6, v11
	v_ldexp_f32 v13, v13, v17
	v_cndmask_b32_e64 v13, 0, v13, s[0:1]
	v_ldexp_f32 v15, v15, v19
	v_cmp_ngt_f32_e64 s[0:1], s6, v12
	v_mov_b32_e32 v16, 0x7f800000
	v_cndmask_b32_e64 v15, 0, v15, s[0:1]
	v_cmp_nlt_f32_e64 s[0:1], s7, v11
	v_cndmask_b32_e64 v13, v16, v13, s[0:1]
	v_cmp_nlt_f32_e64 s[0:1], s7, v12
	v_cndmask_b32_e64 v15, v16, v15, s[0:1]
	v_add_f32_e32 v11, v13, v15
	ds_bpermute_b32 v12, v4, v11
	ds_write2st64_b32 v14, v13, v15 offset1:16
	s_waitcnt lgkmcnt(1)
	v_add_f32_e32 v11, v11, v12
	ds_bpermute_b32 v12, v5, v11
	s_waitcnt lgkmcnt(0)
	v_add_f32_e32 v11, v11, v12
	ds_bpermute_b32 v12, v6, v11
	;; [unrolled: 3-line block ×4, first 2 shown]
	s_and_saveexec_b64 s[0:1], vcc
	s_cbranch_execz .LBB5_21
; %bb.20:
	s_waitcnt lgkmcnt(0)
	v_add_f32_e32 v11, v11, v12
	v_add_u32_e32 v0, 0, v0
	ds_write_b32 v0, v11
.LBB5_21:
	s_or_b64 exec, exec, s[0:1]
	s_waitcnt lgkmcnt(0)
	s_barrier
	ds_read_b32 v0, v9
	s_lshl_b64 s[0:1], s[4:5], 11
	s_andn2_b64 vcc, exec, s[2:3]
	s_waitcnt lgkmcnt(0)
	ds_bpermute_b32 v4, v4, v0
	s_waitcnt lgkmcnt(0)
	v_add_f32_e32 v0, v0, v4
	ds_bpermute_b32 v4, v5, v0
	s_waitcnt lgkmcnt(0)
	v_add_f32_e32 v0, v0, v4
	;; [unrolled: 3-line block ×5, first 2 shown]
	s_cbranch_vccnz .LBB5_23
; %bb.22:
	s_lshl_b64 s[2:3], s[10:11], 2
	s_add_u32 s2, s24, s2
	s_addc_u32 s3, s25, s3
	s_load_dword s2, s[2:3], 0x0
	s_mov_b32 s3, 0x3fb8aa3b
	s_waitcnt lgkmcnt(0)
	v_sub_f32_e32 v4, s2, v10
	v_mul_f32_e32 v5, 0x3fb8aa3b, v4
	v_fma_f32 v6, v4, s3, -v5
	v_rndne_f32_e32 v7, v5
	v_fmac_f32_e32 v6, 0x32a5705f, v4
	v_sub_f32_e32 v5, v5, v7
	v_add_f32_e32 v5, v5, v6
	v_cvt_i32_f32_e32 v7, v7
	v_exp_f32_e32 v5, v5
	s_mov_b32 s2, 0xc2ce8ed0
	s_mov_b32 s3, 0x42b17218
	v_cmp_ngt_f32_e32 vcc, s2, v4
	v_ldexp_f32 v5, v5, v7
	v_cndmask_b32_e32 v5, 0, v5, vcc
	v_mov_b32_e32 v6, 0x7f800000
	v_cmp_nlt_f32_e32 vcc, s3, v4
	v_cndmask_b32_e32 v4, v6, v5, vcc
	v_add_f32_e32 v0, v0, v4
.LBB5_23:
	v_div_scale_f32 v4, s[2:3], v0, v0, 1.0
	v_div_scale_f32 v5, vcc, 1.0, v0, 1.0
	v_add_u32_e32 v3, 0x80, v3
	s_lshl_b64 s[0:1], s[0:1], 2
	s_add_u32 s0, s26, s0
	s_addc_u32 s1, s27, s1
	v_rcp_f32_e32 v6, v4
	v_fma_f32 v7, -v4, v6, 1.0
	v_fmac_f32_e32 v6, v7, v6
	v_mul_f32_e32 v7, v5, v6
	v_fma_f32 v8, -v4, v7, v5
	v_fmac_f32_e32 v7, v8, v6
	v_fma_f32 v4, -v4, v7, v5
	v_div_fmas_f32 v5, v4, v6, v7
	ds_read2st64_b32 v[3:4], v3 offset1:16
	v_div_fixup_f32 v0, v5, v0, 1.0
	s_waitcnt lgkmcnt(0)
	v_mul_f32_e32 v3, v0, v3
	v_mul_f32_e32 v0, v0, v4
	global_store_dword v1, v3, s[0:1]
	global_store_dword v2, v0, s[0:1]
	s_endpgm
	.section	.rodata,"a",@progbits
	.p2align	6, 0x0
	.amdhsa_kernel _ZL12soft_max_f32ILb1ELi2048ELi1024E6__halfEvPKfPKT2_S2_Pf15soft_max_params
		.amdhsa_group_segment_fixed_size 0
		.amdhsa_private_segment_fixed_size 0
		.amdhsa_kernarg_size 416
		.amdhsa_user_sgpr_count 6
		.amdhsa_user_sgpr_private_segment_buffer 1
		.amdhsa_user_sgpr_dispatch_ptr 0
		.amdhsa_user_sgpr_queue_ptr 0
		.amdhsa_user_sgpr_kernarg_segment_ptr 1
		.amdhsa_user_sgpr_dispatch_id 0
		.amdhsa_user_sgpr_flat_scratch_init 0
		.amdhsa_user_sgpr_private_segment_size 0
		.amdhsa_uses_dynamic_stack 0
		.amdhsa_system_sgpr_private_segment_wavefront_offset 0
		.amdhsa_system_sgpr_workgroup_id_x 1
		.amdhsa_system_sgpr_workgroup_id_y 1
		.amdhsa_system_sgpr_workgroup_id_z 1
		.amdhsa_system_sgpr_workgroup_info 0
		.amdhsa_system_vgpr_workitem_id 0
		.amdhsa_next_free_vgpr 20
		.amdhsa_next_free_sgpr 36
		.amdhsa_reserve_vcc 1
		.amdhsa_reserve_flat_scratch 0
		.amdhsa_float_round_mode_32 0
		.amdhsa_float_round_mode_16_64 0
		.amdhsa_float_denorm_mode_32 3
		.amdhsa_float_denorm_mode_16_64 3
		.amdhsa_dx10_clamp 1
		.amdhsa_ieee_mode 1
		.amdhsa_fp16_overflow 0
		.amdhsa_exception_fp_ieee_invalid_op 0
		.amdhsa_exception_fp_denorm_src 0
		.amdhsa_exception_fp_ieee_div_zero 0
		.amdhsa_exception_fp_ieee_overflow 0
		.amdhsa_exception_fp_ieee_underflow 0
		.amdhsa_exception_fp_ieee_inexact 0
		.amdhsa_exception_int_div_zero 0
	.end_amdhsa_kernel
	.section	.text._ZL12soft_max_f32ILb1ELi2048ELi1024E6__halfEvPKfPKT2_S2_Pf15soft_max_params,"axG",@progbits,_ZL12soft_max_f32ILb1ELi2048ELi1024E6__halfEvPKfPKT2_S2_Pf15soft_max_params,comdat
.Lfunc_end5:
	.size	_ZL12soft_max_f32ILb1ELi2048ELi1024E6__halfEvPKfPKT2_S2_Pf15soft_max_params, .Lfunc_end5-_ZL12soft_max_f32ILb1ELi2048ELi1024E6__halfEvPKfPKT2_S2_Pf15soft_max_params
                                        ; -- End function
	.set _ZL12soft_max_f32ILb1ELi2048ELi1024E6__halfEvPKfPKT2_S2_Pf15soft_max_params.num_vgpr, 20
	.set _ZL12soft_max_f32ILb1ELi2048ELi1024E6__halfEvPKfPKT2_S2_Pf15soft_max_params.num_agpr, 0
	.set _ZL12soft_max_f32ILb1ELi2048ELi1024E6__halfEvPKfPKT2_S2_Pf15soft_max_params.numbered_sgpr, 36
	.set _ZL12soft_max_f32ILb1ELi2048ELi1024E6__halfEvPKfPKT2_S2_Pf15soft_max_params.num_named_barrier, 0
	.set _ZL12soft_max_f32ILb1ELi2048ELi1024E6__halfEvPKfPKT2_S2_Pf15soft_max_params.private_seg_size, 0
	.set _ZL12soft_max_f32ILb1ELi2048ELi1024E6__halfEvPKfPKT2_S2_Pf15soft_max_params.uses_vcc, 1
	.set _ZL12soft_max_f32ILb1ELi2048ELi1024E6__halfEvPKfPKT2_S2_Pf15soft_max_params.uses_flat_scratch, 0
	.set _ZL12soft_max_f32ILb1ELi2048ELi1024E6__halfEvPKfPKT2_S2_Pf15soft_max_params.has_dyn_sized_stack, 0
	.set _ZL12soft_max_f32ILb1ELi2048ELi1024E6__halfEvPKfPKT2_S2_Pf15soft_max_params.has_recursion, 0
	.set _ZL12soft_max_f32ILb1ELi2048ELi1024E6__halfEvPKfPKT2_S2_Pf15soft_max_params.has_indirect_call, 0
	.section	.AMDGPU.csdata,"",@progbits
; Kernel info:
; codeLenInByte = 3740
; TotalNumSgprs: 40
; NumVgprs: 20
; ScratchSize: 0
; MemoryBound: 0
; FloatMode: 240
; IeeeMode: 1
; LDSByteSize: 0 bytes/workgroup (compile time only)
; SGPRBlocks: 4
; VGPRBlocks: 4
; NumSGPRsForWavesPerEU: 40
; NumVGPRsForWavesPerEU: 20
; Occupancy: 10
; WaveLimiterHint : 1
; COMPUTE_PGM_RSRC2:SCRATCH_EN: 0
; COMPUTE_PGM_RSRC2:USER_SGPR: 6
; COMPUTE_PGM_RSRC2:TRAP_HANDLER: 0
; COMPUTE_PGM_RSRC2:TGID_X_EN: 1
; COMPUTE_PGM_RSRC2:TGID_Y_EN: 1
; COMPUTE_PGM_RSRC2:TGID_Z_EN: 1
; COMPUTE_PGM_RSRC2:TIDIG_COMP_CNT: 0
	.section	.text._ZL12soft_max_f32ILb1ELi1024ELi1024E6__halfEvPKfPKT2_S2_Pf15soft_max_params,"axG",@progbits,_ZL12soft_max_f32ILb1ELi1024ELi1024E6__halfEvPKfPKT2_S2_Pf15soft_max_params,comdat
	.globl	_ZL12soft_max_f32ILb1ELi1024ELi1024E6__halfEvPKfPKT2_S2_Pf15soft_max_params ; -- Begin function _ZL12soft_max_f32ILb1ELi1024ELi1024E6__halfEvPKfPKT2_S2_Pf15soft_max_params
	.p2align	8
	.type	_ZL12soft_max_f32ILb1ELi1024ELi1024E6__halfEvPKfPKT2_S2_Pf15soft_max_params,@function
_ZL12soft_max_f32ILb1ELi1024ELi1024E6__halfEvPKfPKT2_S2_Pf15soft_max_params: ; @_ZL12soft_max_f32ILb1ELi1024ELi1024E6__halfEvPKfPKT2_S2_Pf15soft_max_params
; %bb.0:
	s_load_dwordx8 s[12:19], s[4:5], 0x68
	s_load_dwordx2 s[0:1], s[4:5], 0x88
	s_mov_b32 s11, 0
	s_mov_b32 s2, s11
	s_mov_b32 s10, s7
	s_waitcnt lgkmcnt(0)
	s_mov_b32 s3, s19
	s_cmp_lg_u64 s[2:3], 0
	s_cbranch_scc0 .LBB6_10
; %bb.1:
	s_ashr_i32 s2, s19, 31
	s_add_u32 s20, s18, s2
	s_mov_b32 s3, s2
	s_addc_u32 s21, s19, s2
	s_xor_b64 s[20:21], s[20:21], s[2:3]
	v_cvt_f32_u32_e32 v1, s20
	v_cvt_f32_u32_e32 v2, s21
	s_sub_u32 s7, 0, s20
	s_subb_u32 s9, 0, s21
	v_madmk_f32 v1, v2, 0x4f800000, v1
	v_rcp_f32_e32 v1, v1
	v_mul_f32_e32 v1, 0x5f7ffffc, v1
	v_mul_f32_e32 v2, 0x2f800000, v1
	v_trunc_f32_e32 v2, v2
	v_madmk_f32 v1, v2, 0xcf800000, v1
	v_cvt_u32_f32_e32 v2, v2
	v_cvt_u32_f32_e32 v1, v1
	v_readfirstlane_b32 s19, v2
	v_readfirstlane_b32 s22, v1
	s_mul_i32 s23, s7, s19
	s_mul_hi_u32 s25, s7, s22
	s_mul_i32 s24, s9, s22
	s_add_i32 s23, s25, s23
	s_add_i32 s23, s23, s24
	s_mul_i32 s26, s7, s22
	s_mul_i32 s25, s22, s23
	s_mul_hi_u32 s27, s22, s26
	s_mul_hi_u32 s24, s22, s23
	s_add_u32 s25, s27, s25
	s_addc_u32 s24, 0, s24
	s_mul_hi_u32 s28, s19, s26
	s_mul_i32 s26, s19, s26
	s_add_u32 s25, s25, s26
	s_mul_hi_u32 s27, s19, s23
	s_addc_u32 s24, s24, s28
	s_addc_u32 s25, s27, 0
	s_mul_i32 s23, s19, s23
	s_add_u32 s23, s24, s23
	s_addc_u32 s24, 0, s25
	s_add_u32 s25, s22, s23
	s_cselect_b64 s[22:23], -1, 0
	s_cmp_lg_u64 s[22:23], 0
	s_addc_u32 s19, s19, s24
	s_mul_i32 s22, s7, s19
	s_mul_hi_u32 s23, s7, s25
	s_add_i32 s22, s23, s22
	s_mul_i32 s9, s9, s25
	s_add_i32 s22, s22, s9
	s_mul_i32 s7, s7, s25
	s_mul_hi_u32 s23, s19, s7
	s_mul_i32 s24, s19, s7
	s_mul_i32 s27, s25, s22
	s_mul_hi_u32 s7, s25, s7
	s_mul_hi_u32 s26, s25, s22
	s_add_u32 s7, s7, s27
	s_addc_u32 s26, 0, s26
	s_add_u32 s7, s7, s24
	s_mul_hi_u32 s9, s19, s22
	s_addc_u32 s7, s26, s23
	s_addc_u32 s9, s9, 0
	s_mul_i32 s22, s19, s22
	s_add_u32 s7, s7, s22
	s_addc_u32 s9, 0, s9
	s_add_u32 s7, s25, s7
	s_cselect_b64 s[22:23], -1, 0
	s_cmp_lg_u64 s[22:23], 0
	s_addc_u32 s9, s19, s9
	s_add_u32 s22, s10, 0
	s_addc_u32 s23, 0, 0
	s_xor_b64 s[22:23], s[22:23], 0
	s_mul_i32 s24, s22, s9
	s_mul_hi_u32 s25, s22, s7
	s_mul_hi_u32 s19, s22, s9
	s_add_u32 s24, s25, s24
	s_addc_u32 s19, 0, s19
	s_mul_hi_u32 s26, s23, s7
	s_mul_i32 s7, s23, s7
	s_add_u32 s7, s24, s7
	s_mul_hi_u32 s25, s23, s9
	s_addc_u32 s7, s19, s26
	s_addc_u32 s19, s25, 0
	s_mul_i32 s9, s23, s9
	s_add_u32 s7, s7, s9
	s_addc_u32 s9, 0, s19
	s_mul_i32 s9, s20, s9
	s_mul_hi_u32 s19, s20, s7
	s_add_i32 s9, s19, s9
	s_mul_i32 s19, s21, s7
	s_add_i32 s9, s9, s19
	s_sub_i32 s19, s23, s9
	s_mul_i32 s7, s20, s7
	s_sub_u32 s7, s22, s7
	s_cselect_b64 s[24:25], -1, 0
	s_cmp_lg_u64 s[24:25], 0
	s_subb_u32 s19, s19, s21
	s_sub_u32 s22, s7, s20
	s_cselect_b64 s[26:27], -1, 0
	s_cmp_lg_u64 s[26:27], 0
	s_subb_u32 s28, s19, 0
	s_cmp_ge_u32 s28, s21
	s_cselect_b32 s29, -1, 0
	s_cmp_ge_u32 s22, s20
	s_cselect_b32 s30, -1, 0
	s_cmp_eq_u32 s28, s21
	s_cselect_b32 s29, s30, s29
	s_cmp_lg_u64 s[26:27], 0
	s_subb_u32 s19, s19, s21
	s_sub_u32 s30, s22, s20
	s_cselect_b64 s[26:27], -1, 0
	s_cmp_lg_u64 s[26:27], 0
	s_subb_u32 s19, s19, 0
	s_cmp_lg_u32 s29, 0
	s_cselect_b32 s22, s30, s22
	s_cselect_b32 s19, s19, s28
	s_cmp_lg_u64 s[24:25], 0
	s_subb_u32 s9, s23, s9
	s_cmp_ge_u32 s9, s21
	s_cselect_b32 s23, -1, 0
	s_cmp_ge_u32 s7, s20
	s_cselect_b32 s20, -1, 0
	s_cmp_eq_u32 s9, s21
	s_cselect_b32 s20, s20, s23
	s_cmp_lg_u32 s20, 0
	s_cselect_b32 s21, s19, s9
	s_cselect_b32 s20, s22, s7
	s_xor_b64 s[20:21], s[20:21], 0
	s_sub_u32 s28, s20, 0
	s_subb_u32 s29, s21, 0
	s_cbranch_execnz .LBB6_3
.LBB6_2:
	v_cvt_f32_u32_e32 v1, s18
	s_sub_i32 s2, 0, s18
	s_mov_b32 s29, 0
	v_rcp_iflag_f32_e32 v1, v1
	v_mul_f32_e32 v1, 0x4f7ffffe, v1
	v_cvt_u32_f32_e32 v1, v1
	v_readfirstlane_b32 s3, v1
	s_mul_i32 s2, s2, s3
	s_mul_hi_u32 s2, s3, s2
	s_add_i32 s3, s3, s2
	s_mul_hi_u32 s2, s10, s3
	s_mul_i32 s2, s2, s18
	s_sub_i32 s2, s10, s2
	s_sub_i32 s3, s2, s18
	s_cmp_ge_u32 s2, s18
	s_cselect_b32 s2, s3, s2
	s_sub_i32 s3, s2, s18
	s_cmp_ge_u32 s2, s18
	s_cselect_b32 s28, s3, s2
.LBB6_3:
	s_load_dwordx2 s[18:19], s[4:5], 0x90
	s_mov_b32 s2, 0
	s_mov_b32 s3, s1
	s_cmp_lg_u64 s[2:3], 0
	s_cbranch_scc0 .LBB6_11
; %bb.4:
	s_ashr_i32 s2, s1, 31
	s_add_u32 s20, s0, s2
	s_mov_b32 s3, s2
	s_addc_u32 s21, s1, s2
	s_xor_b64 s[20:21], s[20:21], s[2:3]
	v_cvt_f32_u32_e32 v1, s20
	v_cvt_f32_u32_e32 v2, s21
	s_sub_u32 s1, 0, s20
	s_subb_u32 s7, 0, s21
	v_madmk_f32 v1, v2, 0x4f800000, v1
	v_rcp_f32_e32 v1, v1
	v_mul_f32_e32 v1, 0x5f7ffffc, v1
	v_mul_f32_e32 v2, 0x2f800000, v1
	v_trunc_f32_e32 v2, v2
	v_madmk_f32 v1, v2, 0xcf800000, v1
	v_cvt_u32_f32_e32 v2, v2
	v_cvt_u32_f32_e32 v1, v1
	v_readfirstlane_b32 s9, v2
	v_readfirstlane_b32 s22, v1
	s_mul_i32 s23, s1, s9
	s_mul_hi_u32 s25, s1, s22
	s_mul_i32 s24, s7, s22
	s_add_i32 s23, s25, s23
	s_add_i32 s23, s23, s24
	s_mul_i32 s26, s1, s22
	s_mul_i32 s25, s22, s23
	s_mul_hi_u32 s27, s22, s26
	s_mul_hi_u32 s24, s22, s23
	s_add_u32 s25, s27, s25
	s_addc_u32 s24, 0, s24
	s_mul_hi_u32 s30, s9, s26
	s_mul_i32 s26, s9, s26
	s_add_u32 s25, s25, s26
	s_mul_hi_u32 s27, s9, s23
	s_addc_u32 s24, s24, s30
	s_addc_u32 s25, s27, 0
	s_mul_i32 s23, s9, s23
	s_add_u32 s23, s24, s23
	s_addc_u32 s24, 0, s25
	s_add_u32 s25, s22, s23
	s_cselect_b64 s[22:23], -1, 0
	s_cmp_lg_u64 s[22:23], 0
	s_addc_u32 s9, s9, s24
	s_mul_i32 s22, s1, s9
	s_mul_hi_u32 s23, s1, s25
	s_add_i32 s22, s23, s22
	s_mul_i32 s7, s7, s25
	s_add_i32 s22, s22, s7
	s_mul_i32 s1, s1, s25
	s_mul_hi_u32 s23, s9, s1
	s_mul_i32 s24, s9, s1
	s_mul_i32 s27, s25, s22
	s_mul_hi_u32 s1, s25, s1
	s_mul_hi_u32 s26, s25, s22
	s_add_u32 s1, s1, s27
	s_addc_u32 s26, 0, s26
	s_add_u32 s1, s1, s24
	s_mul_hi_u32 s7, s9, s22
	s_addc_u32 s1, s26, s23
	s_addc_u32 s7, s7, 0
	s_mul_i32 s22, s9, s22
	s_add_u32 s1, s1, s22
	s_addc_u32 s7, 0, s7
	s_add_u32 s1, s25, s1
	s_cselect_b64 s[22:23], -1, 0
	s_cmp_lg_u64 s[22:23], 0
	s_addc_u32 s7, s9, s7
	s_add_u32 s22, s8, 0
	s_addc_u32 s23, 0, 0
	s_xor_b64 s[22:23], s[22:23], 0
	s_mul_i32 s24, s22, s7
	s_mul_hi_u32 s25, s22, s1
	s_mul_hi_u32 s9, s22, s7
	s_add_u32 s24, s25, s24
	s_addc_u32 s9, 0, s9
	s_mul_hi_u32 s26, s23, s1
	s_mul_i32 s1, s23, s1
	s_add_u32 s1, s24, s1
	s_mul_hi_u32 s25, s23, s7
	s_addc_u32 s1, s9, s26
	s_addc_u32 s9, s25, 0
	s_mul_i32 s7, s23, s7
	s_add_u32 s1, s1, s7
	s_addc_u32 s7, 0, s9
	s_mul_i32 s7, s20, s7
	s_mul_hi_u32 s9, s20, s1
	s_add_i32 s7, s9, s7
	s_mul_i32 s9, s21, s1
	s_add_i32 s7, s7, s9
	s_sub_i32 s9, s23, s7
	s_mul_i32 s1, s20, s1
	s_sub_u32 s1, s22, s1
	s_cselect_b64 s[24:25], -1, 0
	s_cmp_lg_u64 s[24:25], 0
	s_subb_u32 s9, s9, s21
	s_sub_u32 s22, s1, s20
	s_cselect_b64 s[26:27], -1, 0
	s_cmp_lg_u64 s[26:27], 0
	s_subb_u32 s30, s9, 0
	s_cmp_ge_u32 s30, s21
	s_cselect_b32 s31, -1, 0
	s_cmp_ge_u32 s22, s20
	s_cselect_b32 s33, -1, 0
	s_cmp_eq_u32 s30, s21
	s_cselect_b32 s31, s33, s31
	s_cmp_lg_u64 s[26:27], 0
	s_subb_u32 s9, s9, s21
	s_sub_u32 s33, s22, s20
	s_cselect_b64 s[26:27], -1, 0
	s_cmp_lg_u64 s[26:27], 0
	s_subb_u32 s9, s9, 0
	s_cmp_lg_u32 s31, 0
	s_cselect_b32 s22, s33, s22
	s_cselect_b32 s9, s9, s30
	s_cmp_lg_u64 s[24:25], 0
	s_subb_u32 s7, s23, s7
	s_cmp_ge_u32 s7, s21
	s_cselect_b32 s23, -1, 0
	s_cmp_ge_u32 s1, s20
	s_cselect_b32 s20, -1, 0
	s_cmp_eq_u32 s7, s21
	s_cselect_b32 s20, s20, s23
	s_cmp_lg_u32 s20, 0
	s_cselect_b32 s21, s9, s7
	s_cselect_b32 s20, s22, s1
	s_xor_b64 s[20:21], s[20:21], 0
	s_sub_u32 s30, s20, 0
	s_subb_u32 s31, s21, 0
	s_cbranch_execnz .LBB6_6
.LBB6_5:
	v_cvt_f32_u32_e32 v1, s0
	s_sub_i32 s1, 0, s0
	s_mov_b32 s31, 0
	v_rcp_iflag_f32_e32 v1, v1
	v_mul_f32_e32 v1, 0x4f7ffffe, v1
	v_cvt_u32_f32_e32 v1, v1
	v_readfirstlane_b32 s2, v1
	s_mul_i32 s1, s1, s2
	s_mul_hi_u32 s1, s2, s1
	s_add_i32 s2, s2, s1
	s_mul_hi_u32 s1, s8, s2
	s_mul_i32 s1, s1, s0
	s_sub_i32 s1, s8, s1
	s_sub_i32 s2, s1, s0
	s_cmp_ge_u32 s1, s0
	s_cselect_b32 s1, s2, s1
	s_sub_i32 s2, s1, s0
	s_cmp_ge_u32 s1, s0
	s_cselect_b32 s30, s2, s1
.LBB6_6:
	s_load_dwordx2 s[34:35], s[4:5], 0xa0
	s_waitcnt lgkmcnt(0)
	v_cmp_le_f32_e64 s[0:1], s19, 0
	s_and_b64 vcc, exec, s[0:1]
	v_mov_b32_e32 v2, 1.0
	s_cbranch_vccnz .LBB6_8
; %bb.7:
	s_load_dword s2, s[4:5], 0x28
	s_load_dwordx2 s[0:1], s[4:5], 0x98
	s_add_i32 s3, s10, 1
	s_waitcnt lgkmcnt(0)
	s_sub_i32 s7, s10, s2
	v_mov_b32_e32 v2, s0
	s_lshl_b32 s0, s7, 1
	s_or_b32 s7, s0, 1
	s_cmp_lt_u32 s10, s2
	s_cselect_b64 vcc, -1, 0
	v_mov_b32_e32 v1, s1
	s_and_b64 s[0:1], vcc, exec
	s_cselect_b32 s0, s3, s7
	v_cndmask_b32_e32 v1, v1, v2, vcc
	v_cvt_f32_i32_e32 v2, s0
	v_cmp_neq_f32_e32 vcc, 1.0, v1
	s_mov_b32 s0, 0x3f2aaaab
	s_movk_i32 s2, 0x204
	v_cndmask_b32_e32 v2, 1.0, v2, vcc
	v_cmp_neq_f32_e32 vcc, 0, v2
	v_cndmask_b32_e32 v1, 1.0, v1, vcc
	v_frexp_mant_f32_e64 v3, |v1|
	v_cmp_gt_f32_e32 vcc, s0, v3
	v_cndmask_b32_e64 v4, 1.0, 2.0, vcc
	v_mul_f32_e32 v3, v3, v4
	v_add_f32_e32 v4, 1.0, v3
	v_rcp_f32_e32 v5, v4
	v_add_f32_e32 v6, -1.0, v3
	v_add_f32_e32 v7, -1.0, v4
	v_sub_f32_e32 v3, v3, v7
	v_mul_f32_e32 v7, v6, v5
	v_mul_f32_e32 v8, v4, v7
	v_fma_f32 v4, v7, v4, -v8
	v_fmac_f32_e32 v4, v7, v3
	v_add_f32_e32 v3, v8, v4
	v_sub_f32_e32 v9, v6, v3
	v_sub_f32_e32 v8, v3, v8
	;; [unrolled: 1-line block ×5, first 2 shown]
	v_add_f32_e32 v3, v4, v3
	v_add_f32_e32 v3, v9, v3
	v_mul_f32_e32 v3, v5, v3
	v_add_f32_e32 v5, v7, v3
	v_sub_f32_e32 v4, v5, v7
	v_sub_f32_e32 v6, v3, v4
	v_mul_f32_e32 v3, v5, v5
	v_fma_f32 v4, v5, v5, -v3
	v_add_f32_e32 v7, v6, v6
	v_fmac_f32_e32 v4, v5, v7
	v_add_f32_e32 v7, v3, v4
	v_mov_b32_e32 v8, 0x3e91f4c4
	v_sub_f32_e32 v3, v7, v3
	v_fmac_f32_e32 v8, 0x3e76c4e1, v7
	v_mov_b32_e32 v9, 0x3ecccdef
	v_sub_f32_e32 v3, v4, v3
	v_mul_f32_e32 v4, v5, v7
	v_fmac_f32_e32 v9, v7, v8
	v_fma_f32 v8, v7, v5, -v4
	v_fmac_f32_e32 v8, v7, v6
	v_fmac_f32_e32 v8, v3, v5
	v_add_f32_e32 v10, v4, v8
	v_sub_f32_e32 v4, v10, v4
	v_sub_f32_e32 v8, v8, v4
	v_mul_f32_e32 v4, v7, v9
	v_fma_f32 v7, v7, v9, -v4
	v_fmac_f32_e32 v7, v3, v9
	v_add_f32_e32 v9, v4, v7
	v_sub_f32_e32 v3, v9, v4
	v_sub_f32_e32 v7, v7, v3
	v_cvt_f64_f32_e64 v[3:4], |v1|
	v_add_f32_e32 v11, 0x3f2aaaaa, v9
	v_add_f32_e32 v12, 0xbf2aaaaa, v11
	;; [unrolled: 1-line block ×3, first 2 shown]
	v_frexp_exp_i32_f64_e32 v3, v[3:4]
	v_sub_f32_e32 v9, v9, v12
	v_add_f32_e32 v4, v7, v9
	v_add_f32_e32 v7, v11, v4
	v_sub_f32_e32 v9, v11, v7
	v_add_f32_e32 v4, v4, v9
	v_mul_f32_e32 v9, v10, v7
	v_fma_f32 v11, v10, v7, -v9
	v_subbrev_co_u32_e32 v3, vcc, 0, v3, vcc
	v_cvt_f32_i32_e32 v3, v3
	v_fmac_f32_e32 v11, v10, v4
	s_mov_b32 s0, 0x3f317218
	v_fmac_f32_e32 v11, v8, v7
	v_mul_f32_e32 v4, 0x3f317218, v3
	v_fma_f32 v7, v3, s0, -v4
	v_fmac_f32_e32 v7, 0xb102e308, v3
	v_ldexp_f32 v3, v6, 1
	v_add_f32_e32 v6, v4, v7
	v_sub_f32_e32 v4, v6, v4
	v_ldexp_f32 v5, v5, 1
	v_sub_f32_e32 v4, v7, v4
	v_add_f32_e32 v7, v9, v11
	v_sub_f32_e32 v8, v7, v9
	v_add_f32_e32 v9, v5, v7
	v_sub_f32_e32 v8, v11, v8
	v_sub_f32_e32 v5, v9, v5
	;; [unrolled: 1-line block ×3, first 2 shown]
	v_add_f32_e32 v3, v3, v8
	v_add_f32_e32 v3, v3, v5
	;; [unrolled: 1-line block ×3, first 2 shown]
	v_sub_f32_e32 v7, v5, v9
	v_sub_f32_e32 v3, v3, v7
	v_add_f32_e32 v7, v6, v5
	v_sub_f32_e32 v8, v7, v6
	v_sub_f32_e32 v9, v7, v8
	;; [unrolled: 1-line block ×4, first 2 shown]
	v_add_f32_e32 v5, v5, v6
	v_add_f32_e32 v6, v4, v3
	v_sub_f32_e32 v8, v6, v4
	v_sub_f32_e32 v9, v6, v8
	;; [unrolled: 1-line block ×4, first 2 shown]
	v_add_f32_e32 v3, v3, v4
	v_add_f32_e32 v4, v6, v5
	;; [unrolled: 1-line block ×3, first 2 shown]
	v_sub_f32_e32 v6, v5, v7
	v_sub_f32_e32 v4, v4, v6
	v_add_f32_e32 v3, v3, v4
	v_add_f32_e32 v4, v5, v3
	v_sub_f32_e32 v5, v4, v5
	v_sub_f32_e32 v3, v3, v5
	v_mul_f32_e32 v5, v2, v4
	v_fma_f32 v4, v2, v4, -v5
	v_fmac_f32_e32 v4, v2, v3
	v_add_f32_e32 v3, v5, v4
	v_cmp_class_f32_e64 vcc, v5, s2
	v_sub_f32_e32 v6, v3, v5
	v_cndmask_b32_e32 v3, v3, v5, vcc
	s_mov_b32 s1, 0x42b17218
	v_mov_b32_e32 v5, 0x37000000
	v_cmp_eq_f32_e32 vcc, s1, v3
	v_cndmask_b32_e32 v5, 0, v5, vcc
	v_sub_f32_e32 v4, v4, v6
	v_sub_f32_e32 v6, v3, v5
	s_mov_b32 s3, 0x3fb8aa3b
	v_mul_f32_e32 v7, 0x3fb8aa3b, v6
	v_fma_f32 v8, v6, s3, -v7
	v_rndne_f32_e32 v9, v7
	v_fmac_f32_e32 v8, 0x32a5705f, v6
	v_sub_f32_e32 v7, v7, v9
	v_add_f32_e32 v7, v7, v8
	v_exp_f32_e32 v7, v7
	v_cvt_i32_f32_e32 v8, v9
	s_mov_b32 s0, 0x7f800000
	v_cmp_neq_f32_e64 vcc, |v3|, s0
	s_mov_b32 s0, 0xc2ce8ed0
	v_cndmask_b32_e32 v3, 0, v4, vcc
	v_ldexp_f32 v4, v7, v8
	v_cmp_ngt_f32_e32 vcc, s0, v6
	v_add_f32_e32 v3, v5, v3
	v_cndmask_b32_e32 v4, 0, v4, vcc
	v_mov_b32_e32 v5, 0x7f800000
	v_cmp_nlt_f32_e32 vcc, s1, v6
	v_cndmask_b32_e32 v4, v5, v4, vcc
	v_fma_f32 v3, v4, v3, v4
	v_cmp_class_f32_e64 vcc, v4, s2
	v_cndmask_b32_e32 v3, v3, v4, vcc
	v_trunc_f32_e32 v4, v2
	v_cmp_eq_f32_e32 vcc, v4, v2
	v_mul_f32_e32 v4, 0.5, v2
	v_trunc_f32_e32 v7, v4
	v_cmp_neq_f32_e64 s[0:1], v7, v4
	s_and_b64 s[0:1], vcc, s[0:1]
	v_cndmask_b32_e64 v4, 1.0, v1, s[0:1]
	s_brev_b32 s7, -2
	v_mov_b32_e32 v6, 0x7fc00000
	v_bfi_b32 v3, s7, v3, v4
	v_cndmask_b32_e32 v4, v6, v3, vcc
	v_cmp_gt_f32_e32 vcc, 0, v1
	v_cndmask_b32_e32 v3, v3, v4, vcc
	v_cmp_class_f32_e64 s[20:21], v1, s2
	v_cmp_eq_f32_e32 vcc, 0, v1
	v_cmp_gt_f32_e64 s[2:3], 0, v2
	s_xor_b64 s[2:3], s[2:3], vcc
	v_cndmask_b32_e64 v2, v5, 0, s[2:3]
	v_cndmask_b32_e64 v4, 0, v1, s[0:1]
	v_bfi_b32 v2, s7, v2, v4
	s_or_b64 vcc, vcc, s[20:21]
	v_cndmask_b32_e32 v2, v3, v2, vcc
	v_cmp_o_f32_e32 vcc, v1, v1
	v_cndmask_b32_e32 v2, v6, v2, vcc
.LBB6_8:
	s_load_dwordx8 s[20:27], s[4:5], 0x0
	s_waitcnt lgkmcnt(0)
	s_cmp_lg_u64 s[24:25], 0
	s_cselect_b64 s[2:3], -1, 0
	s_cmp_eq_u64 s[24:25], 0
	s_cbranch_scc1 .LBB6_12
; %bb.9:
	s_lshl_b64 s[0:1], s[10:11], 2
	s_add_u32 s0, s24, s0
	s_addc_u32 s1, s25, s1
	s_load_dword s7, s[0:1], 0x0
	s_branch .LBB6_13
.LBB6_10:
                                        ; implicit-def: $sgpr28_sgpr29
	s_branch .LBB6_2
.LBB6_11:
                                        ; implicit-def: $sgpr30_sgpr31
	s_branch .LBB6_5
.LBB6_12:
	s_mov_b32 s7, 0xff800000
.LBB6_13:
	s_mul_i32 s0, s35, s8
	s_add_i32 s0, s0, s10
	s_mul_i32 s0, s0, s34
	s_add_i32 s4, s0, s6
	s_ashr_i32 s5, s4, 31
	s_lshl_b64 s[0:1], s[4:5], 12
	s_add_u32 s0, s20, s0
	s_addc_u32 s1, s21, s1
	v_lshlrev_b32_e32 v1, 2, v0
	global_load_dword v3, v1, s[0:1]
	s_cmp_eq_u64 s[22:23], 0
	s_cselect_b64 s[0:1], -1, 0
	s_cmp_lg_u64 s[22:23], 0
	v_mov_b32_e32 v8, 0
	s_cbranch_scc0 .LBB6_15
; %bb.14:
	s_mul_i32 s8, s13, s6
	s_mul_hi_u32 s9, s12, s6
	s_add_i32 s9, s9, s8
	s_mul_i32 s6, s12, s6
	s_mul_i32 s8, s28, s15
	s_mul_hi_u32 s12, s28, s14
	s_add_i32 s8, s12, s8
	s_mul_i32 s12, s29, s14
	s_add_i32 s8, s8, s12
	s_mul_i32 s12, s28, s14
	s_add_u32 s6, s12, s6
	s_addc_u32 s9, s8, s9
	s_mul_i32 s8, s30, s17
	s_mul_hi_u32 s12, s30, s16
	s_add_i32 s8, s12, s8
	s_mul_i32 s12, s31, s16
	s_add_i32 s12, s8, s12
	s_mul_i32 s8, s30, s16
	s_add_u32 s8, s6, s8
	s_addc_u32 s9, s9, s12
	s_lshr_b64 s[8:9], s[8:9], 1
	s_and_b64 s[0:1], s[0:1], exec
	s_cselect_b32 s1, 0, s9
	s_cselect_b32 s0, 0, s8
	s_lshl_b64 s[0:1], s[0:1], 1
	s_add_u32 s0, s22, s0
	s_addc_u32 s1, s23, s1
	v_lshlrev_b32_e32 v4, 1, v0
	global_load_ushort v4, v4, s[0:1]
	s_waitcnt vmcnt(0)
	v_cvt_f32_f16_e32 v4, v4
	v_mul_f32_e32 v8, v2, v4
.LBB6_15:
	s_waitcnt vmcnt(0)
	v_fmac_f32_e32 v8, s18, v3
	v_mbcnt_lo_u32_b32 v3, -1, 0
	v_mbcnt_hi_u32_b32 v7, -1, v3
	v_and_b32_e32 v3, 0x60, v7
	v_add_u32_e32 v10, 32, v3
	v_xor_b32_e32 v3, 16, v7
	v_cmp_lt_i32_e32 vcc, v3, v10
	s_waitcnt lgkmcnt(0)
	v_max_f32_e64 v2, s7, s7
	v_cndmask_b32_e32 v3, v7, v3, vcc
	v_max_f32_e32 v2, v2, v8
	v_lshlrev_b32_e32 v3, 2, v3
	ds_bpermute_b32 v4, v3, v2
	s_waitcnt lgkmcnt(0)
	v_max_f32_e32 v4, v4, v4
	v_max_f32_e32 v2, v2, v4
	v_xor_b32_e32 v4, 8, v7
	v_cmp_lt_i32_e32 vcc, v4, v10
	v_cndmask_b32_e32 v4, v7, v4, vcc
	v_lshlrev_b32_e32 v4, 2, v4
	ds_bpermute_b32 v5, v4, v2
	s_waitcnt lgkmcnt(0)
	v_max_f32_e32 v5, v5, v5
	v_max_f32_e32 v2, v2, v5
	v_xor_b32_e32 v5, 4, v7
	v_cmp_lt_i32_e32 vcc, v5, v10
	v_cndmask_b32_e32 v5, v7, v5, vcc
	;; [unrolled: 8-line block ×3, first 2 shown]
	v_lshlrev_b32_e32 v6, 2, v2
	ds_bpermute_b32 v11, v6, v9
	v_lshl_add_u32 v2, v0, 2, 0
	ds_write_b32 v2, v8 offset:128
	v_and_b32_e32 v8, 31, v0
	v_lshrrev_b32_e32 v0, 3, v0
	s_waitcnt lgkmcnt(1)
	v_max_f32_e32 v11, v11, v11
	v_max_f32_e32 v9, v9, v11
	v_xor_b32_e32 v11, 1, v7
	v_cmp_lt_i32_e32 vcc, v11, v10
	v_cndmask_b32_e32 v7, v7, v11, vcc
	v_lshlrev_b32_e32 v7, 2, v7
	ds_bpermute_b32 v10, v7, v9
	v_cmp_eq_u32_e32 vcc, 0, v8
	s_and_saveexec_b64 s[0:1], vcc
	s_xor_b64 s[0:1], exec, s[0:1]
	s_cbranch_execz .LBB6_17
; %bb.16:
	s_waitcnt lgkmcnt(0)
	v_max_f32_e32 v10, v10, v10
	v_max_f32_e32 v9, v9, v9
	;; [unrolled: 1-line block ×3, first 2 shown]
	v_add_u32_e32 v10, 0, v0
	ds_write_b32 v10, v9
.LBB6_17:
	s_or_b64 exec, exec, s[0:1]
	v_lshl_add_u32 v8, v8, 2, 0
	s_waitcnt lgkmcnt(0)
	s_barrier
	ds_read_b32 v9, v8
	ds_read_b32 v10, v2 offset:128
	s_mov_b32 s0, 0x3fb8aa3b
	s_mov_b32 s6, 0x42b17218
	s_waitcnt lgkmcnt(1)
	ds_bpermute_b32 v11, v3, v9
	v_max_f32_e32 v9, v9, v9
	s_waitcnt lgkmcnt(0)
	v_max_f32_e32 v11, v11, v11
	v_max_f32_e32 v9, v9, v11
	ds_bpermute_b32 v11, v4, v9
	s_waitcnt lgkmcnt(0)
	v_max_f32_e32 v11, v11, v11
	v_max_f32_e32 v9, v9, v11
	ds_bpermute_b32 v11, v5, v9
	;; [unrolled: 4-line block ×4, first 2 shown]
	s_waitcnt lgkmcnt(0)
	v_max_f32_e32 v11, v11, v11
	v_max_f32_e32 v9, v9, v11
	v_sub_f32_e32 v10, v10, v9
	v_mul_f32_e32 v11, 0x3fb8aa3b, v10
	v_fma_f32 v12, v10, s0, -v11
	v_rndne_f32_e32 v13, v11
	v_fmac_f32_e32 v12, 0x32a5705f, v10
	v_sub_f32_e32 v11, v11, v13
	v_add_f32_e32 v11, v11, v12
	v_cvt_i32_f32_e32 v13, v13
	v_exp_f32_e32 v11, v11
	s_mov_b32 s0, 0xc2ce8ed0
	v_cmp_ngt_f32_e64 s[0:1], s0, v10
	v_mov_b32_e32 v12, 0x7f800000
	v_ldexp_f32 v11, v11, v13
	v_cndmask_b32_e64 v11, 0, v11, s[0:1]
	v_cmp_nlt_f32_e64 s[0:1], s6, v10
	v_cndmask_b32_e64 v12, v12, v11, s[0:1]
	ds_bpermute_b32 v10, v3, v12
	ds_write_b32 v2, v12 offset:128
	s_waitcnt lgkmcnt(1)
	v_add_f32_e32 v10, v12, v10
	ds_bpermute_b32 v11, v4, v10
	s_waitcnt lgkmcnt(0)
	v_add_f32_e32 v10, v10, v11
	ds_bpermute_b32 v11, v5, v10
	;; [unrolled: 3-line block ×4, first 2 shown]
	s_and_saveexec_b64 s[0:1], vcc
	s_cbranch_execz .LBB6_19
; %bb.18:
	s_waitcnt lgkmcnt(0)
	v_add_f32_e32 v10, v10, v11
	v_add_u32_e32 v0, 0, v0
	ds_write_b32 v0, v10
.LBB6_19:
	s_or_b64 exec, exec, s[0:1]
	s_waitcnt lgkmcnt(0)
	s_barrier
	ds_read_b32 v0, v8
	s_lshl_b64 s[0:1], s[4:5], 10
	s_andn2_b64 vcc, exec, s[2:3]
	s_waitcnt lgkmcnt(0)
	ds_bpermute_b32 v3, v3, v0
	s_waitcnt lgkmcnt(0)
	v_add_f32_e32 v0, v0, v3
	ds_bpermute_b32 v3, v4, v0
	s_waitcnt lgkmcnt(0)
	v_add_f32_e32 v0, v0, v3
	;; [unrolled: 3-line block ×5, first 2 shown]
	s_cbranch_vccnz .LBB6_21
; %bb.20:
	s_lshl_b64 s[2:3], s[10:11], 2
	s_add_u32 s2, s24, s2
	s_addc_u32 s3, s25, s3
	s_load_dword s2, s[2:3], 0x0
	s_mov_b32 s3, 0x3fb8aa3b
	s_waitcnt lgkmcnt(0)
	v_sub_f32_e32 v3, s2, v9
	v_mul_f32_e32 v4, 0x3fb8aa3b, v3
	v_fma_f32 v5, v3, s3, -v4
	v_rndne_f32_e32 v6, v4
	v_fmac_f32_e32 v5, 0x32a5705f, v3
	v_sub_f32_e32 v4, v4, v6
	v_add_f32_e32 v4, v4, v5
	v_cvt_i32_f32_e32 v6, v6
	v_exp_f32_e32 v4, v4
	s_mov_b32 s2, 0xc2ce8ed0
	s_mov_b32 s3, 0x42b17218
	v_cmp_ngt_f32_e32 vcc, s2, v3
	v_ldexp_f32 v4, v4, v6
	v_cndmask_b32_e32 v4, 0, v4, vcc
	v_mov_b32_e32 v5, 0x7f800000
	v_cmp_nlt_f32_e32 vcc, s3, v3
	v_cndmask_b32_e32 v3, v5, v4, vcc
	v_add_f32_e32 v0, v0, v3
.LBB6_21:
	v_div_scale_f32 v3, s[2:3], v0, v0, 1.0
	v_div_scale_f32 v4, vcc, 1.0, v0, 1.0
	ds_read_b32 v2, v2 offset:128
	s_lshl_b64 s[0:1], s[0:1], 2
	s_add_u32 s0, s26, s0
	s_addc_u32 s1, s27, s1
	v_rcp_f32_e32 v5, v3
	v_fma_f32 v6, -v3, v5, 1.0
	v_fmac_f32_e32 v5, v6, v5
	v_mul_f32_e32 v6, v4, v5
	v_fma_f32 v7, -v3, v6, v4
	v_fmac_f32_e32 v6, v7, v5
	v_fma_f32 v3, -v3, v6, v4
	v_div_fmas_f32 v3, v3, v5, v6
	v_div_fixup_f32 v0, v3, v0, 1.0
	s_waitcnt lgkmcnt(0)
	v_mul_f32_e32 v0, v0, v2
	global_store_dword v1, v0, s[0:1]
	s_endpgm
	.section	.rodata,"a",@progbits
	.p2align	6, 0x0
	.amdhsa_kernel _ZL12soft_max_f32ILb1ELi1024ELi1024E6__halfEvPKfPKT2_S2_Pf15soft_max_params
		.amdhsa_group_segment_fixed_size 0
		.amdhsa_private_segment_fixed_size 0
		.amdhsa_kernarg_size 416
		.amdhsa_user_sgpr_count 6
		.amdhsa_user_sgpr_private_segment_buffer 1
		.amdhsa_user_sgpr_dispatch_ptr 0
		.amdhsa_user_sgpr_queue_ptr 0
		.amdhsa_user_sgpr_kernarg_segment_ptr 1
		.amdhsa_user_sgpr_dispatch_id 0
		.amdhsa_user_sgpr_flat_scratch_init 0
		.amdhsa_user_sgpr_private_segment_size 0
		.amdhsa_uses_dynamic_stack 0
		.amdhsa_system_sgpr_private_segment_wavefront_offset 0
		.amdhsa_system_sgpr_workgroup_id_x 1
		.amdhsa_system_sgpr_workgroup_id_y 1
		.amdhsa_system_sgpr_workgroup_id_z 1
		.amdhsa_system_sgpr_workgroup_info 0
		.amdhsa_system_vgpr_workitem_id 0
		.amdhsa_next_free_vgpr 14
		.amdhsa_next_free_sgpr 36
		.amdhsa_reserve_vcc 1
		.amdhsa_reserve_flat_scratch 0
		.amdhsa_float_round_mode_32 0
		.amdhsa_float_round_mode_16_64 0
		.amdhsa_float_denorm_mode_32 3
		.amdhsa_float_denorm_mode_16_64 3
		.amdhsa_dx10_clamp 1
		.amdhsa_ieee_mode 1
		.amdhsa_fp16_overflow 0
		.amdhsa_exception_fp_ieee_invalid_op 0
		.amdhsa_exception_fp_denorm_src 0
		.amdhsa_exception_fp_ieee_div_zero 0
		.amdhsa_exception_fp_ieee_overflow 0
		.amdhsa_exception_fp_ieee_underflow 0
		.amdhsa_exception_fp_ieee_inexact 0
		.amdhsa_exception_int_div_zero 0
	.end_amdhsa_kernel
	.section	.text._ZL12soft_max_f32ILb1ELi1024ELi1024E6__halfEvPKfPKT2_S2_Pf15soft_max_params,"axG",@progbits,_ZL12soft_max_f32ILb1ELi1024ELi1024E6__halfEvPKfPKT2_S2_Pf15soft_max_params,comdat
.Lfunc_end6:
	.size	_ZL12soft_max_f32ILb1ELi1024ELi1024E6__halfEvPKfPKT2_S2_Pf15soft_max_params, .Lfunc_end6-_ZL12soft_max_f32ILb1ELi1024ELi1024E6__halfEvPKfPKT2_S2_Pf15soft_max_params
                                        ; -- End function
	.set _ZL12soft_max_f32ILb1ELi1024ELi1024E6__halfEvPKfPKT2_S2_Pf15soft_max_params.num_vgpr, 14
	.set _ZL12soft_max_f32ILb1ELi1024ELi1024E6__halfEvPKfPKT2_S2_Pf15soft_max_params.num_agpr, 0
	.set _ZL12soft_max_f32ILb1ELi1024ELi1024E6__halfEvPKfPKT2_S2_Pf15soft_max_params.numbered_sgpr, 36
	.set _ZL12soft_max_f32ILb1ELi1024ELi1024E6__halfEvPKfPKT2_S2_Pf15soft_max_params.num_named_barrier, 0
	.set _ZL12soft_max_f32ILb1ELi1024ELi1024E6__halfEvPKfPKT2_S2_Pf15soft_max_params.private_seg_size, 0
	.set _ZL12soft_max_f32ILb1ELi1024ELi1024E6__halfEvPKfPKT2_S2_Pf15soft_max_params.uses_vcc, 1
	.set _ZL12soft_max_f32ILb1ELi1024ELi1024E6__halfEvPKfPKT2_S2_Pf15soft_max_params.uses_flat_scratch, 0
	.set _ZL12soft_max_f32ILb1ELi1024ELi1024E6__halfEvPKfPKT2_S2_Pf15soft_max_params.has_dyn_sized_stack, 0
	.set _ZL12soft_max_f32ILb1ELi1024ELi1024E6__halfEvPKfPKT2_S2_Pf15soft_max_params.has_recursion, 0
	.set _ZL12soft_max_f32ILb1ELi1024ELi1024E6__halfEvPKfPKT2_S2_Pf15soft_max_params.has_indirect_call, 0
	.section	.AMDGPU.csdata,"",@progbits
; Kernel info:
; codeLenInByte = 3556
; TotalNumSgprs: 40
; NumVgprs: 14
; ScratchSize: 0
; MemoryBound: 0
; FloatMode: 240
; IeeeMode: 1
; LDSByteSize: 0 bytes/workgroup (compile time only)
; SGPRBlocks: 4
; VGPRBlocks: 3
; NumSGPRsForWavesPerEU: 40
; NumVGPRsForWavesPerEU: 14
; Occupancy: 10
; WaveLimiterHint : 1
; COMPUTE_PGM_RSRC2:SCRATCH_EN: 0
; COMPUTE_PGM_RSRC2:USER_SGPR: 6
; COMPUTE_PGM_RSRC2:TRAP_HANDLER: 0
; COMPUTE_PGM_RSRC2:TGID_X_EN: 1
; COMPUTE_PGM_RSRC2:TGID_Y_EN: 1
; COMPUTE_PGM_RSRC2:TGID_Z_EN: 1
; COMPUTE_PGM_RSRC2:TIDIG_COMP_CNT: 0
	.section	.text._ZL12soft_max_f32ILb1ELi512ELi512E6__halfEvPKfPKT2_S2_Pf15soft_max_params,"axG",@progbits,_ZL12soft_max_f32ILb1ELi512ELi512E6__halfEvPKfPKT2_S2_Pf15soft_max_params,comdat
	.globl	_ZL12soft_max_f32ILb1ELi512ELi512E6__halfEvPKfPKT2_S2_Pf15soft_max_params ; -- Begin function _ZL12soft_max_f32ILb1ELi512ELi512E6__halfEvPKfPKT2_S2_Pf15soft_max_params
	.p2align	8
	.type	_ZL12soft_max_f32ILb1ELi512ELi512E6__halfEvPKfPKT2_S2_Pf15soft_max_params,@function
_ZL12soft_max_f32ILb1ELi512ELi512E6__halfEvPKfPKT2_S2_Pf15soft_max_params: ; @_ZL12soft_max_f32ILb1ELi512ELi512E6__halfEvPKfPKT2_S2_Pf15soft_max_params
; %bb.0:
	s_load_dwordx8 s[12:19], s[4:5], 0x68
	s_load_dwordx2 s[0:1], s[4:5], 0x88
	s_mov_b32 s11, 0
	s_mov_b32 s2, s11
	;; [unrolled: 1-line block ×3, first 2 shown]
	s_waitcnt lgkmcnt(0)
	s_mov_b32 s3, s19
	s_cmp_lg_u64 s[2:3], 0
	s_cbranch_scc0 .LBB7_10
; %bb.1:
	s_ashr_i32 s2, s19, 31
	s_add_u32 s20, s18, s2
	s_mov_b32 s3, s2
	s_addc_u32 s21, s19, s2
	s_xor_b64 s[20:21], s[20:21], s[2:3]
	v_cvt_f32_u32_e32 v1, s20
	v_cvt_f32_u32_e32 v2, s21
	s_sub_u32 s7, 0, s20
	s_subb_u32 s9, 0, s21
	v_madmk_f32 v1, v2, 0x4f800000, v1
	v_rcp_f32_e32 v1, v1
	v_mul_f32_e32 v1, 0x5f7ffffc, v1
	v_mul_f32_e32 v2, 0x2f800000, v1
	v_trunc_f32_e32 v2, v2
	v_madmk_f32 v1, v2, 0xcf800000, v1
	v_cvt_u32_f32_e32 v2, v2
	v_cvt_u32_f32_e32 v1, v1
	v_readfirstlane_b32 s19, v2
	v_readfirstlane_b32 s22, v1
	s_mul_i32 s23, s7, s19
	s_mul_hi_u32 s25, s7, s22
	s_mul_i32 s24, s9, s22
	s_add_i32 s23, s25, s23
	s_add_i32 s23, s23, s24
	s_mul_i32 s26, s7, s22
	s_mul_i32 s25, s22, s23
	s_mul_hi_u32 s27, s22, s26
	s_mul_hi_u32 s24, s22, s23
	s_add_u32 s25, s27, s25
	s_addc_u32 s24, 0, s24
	s_mul_hi_u32 s28, s19, s26
	s_mul_i32 s26, s19, s26
	s_add_u32 s25, s25, s26
	s_mul_hi_u32 s27, s19, s23
	s_addc_u32 s24, s24, s28
	s_addc_u32 s25, s27, 0
	s_mul_i32 s23, s19, s23
	s_add_u32 s23, s24, s23
	s_addc_u32 s24, 0, s25
	s_add_u32 s25, s22, s23
	s_cselect_b64 s[22:23], -1, 0
	s_cmp_lg_u64 s[22:23], 0
	s_addc_u32 s19, s19, s24
	s_mul_i32 s22, s7, s19
	s_mul_hi_u32 s23, s7, s25
	s_add_i32 s22, s23, s22
	s_mul_i32 s9, s9, s25
	s_add_i32 s22, s22, s9
	s_mul_i32 s7, s7, s25
	s_mul_hi_u32 s23, s19, s7
	s_mul_i32 s24, s19, s7
	s_mul_i32 s27, s25, s22
	s_mul_hi_u32 s7, s25, s7
	s_mul_hi_u32 s26, s25, s22
	s_add_u32 s7, s7, s27
	s_addc_u32 s26, 0, s26
	s_add_u32 s7, s7, s24
	s_mul_hi_u32 s9, s19, s22
	s_addc_u32 s7, s26, s23
	s_addc_u32 s9, s9, 0
	s_mul_i32 s22, s19, s22
	s_add_u32 s7, s7, s22
	s_addc_u32 s9, 0, s9
	s_add_u32 s7, s25, s7
	s_cselect_b64 s[22:23], -1, 0
	s_cmp_lg_u64 s[22:23], 0
	s_addc_u32 s9, s19, s9
	s_add_u32 s22, s10, 0
	s_addc_u32 s23, 0, 0
	s_xor_b64 s[22:23], s[22:23], 0
	s_mul_i32 s24, s22, s9
	s_mul_hi_u32 s25, s22, s7
	s_mul_hi_u32 s19, s22, s9
	s_add_u32 s24, s25, s24
	s_addc_u32 s19, 0, s19
	s_mul_hi_u32 s26, s23, s7
	s_mul_i32 s7, s23, s7
	s_add_u32 s7, s24, s7
	s_mul_hi_u32 s25, s23, s9
	s_addc_u32 s7, s19, s26
	s_addc_u32 s19, s25, 0
	s_mul_i32 s9, s23, s9
	s_add_u32 s7, s7, s9
	s_addc_u32 s9, 0, s19
	s_mul_i32 s9, s20, s9
	s_mul_hi_u32 s19, s20, s7
	s_add_i32 s9, s19, s9
	s_mul_i32 s19, s21, s7
	s_add_i32 s9, s9, s19
	s_sub_i32 s19, s23, s9
	s_mul_i32 s7, s20, s7
	s_sub_u32 s7, s22, s7
	s_cselect_b64 s[24:25], -1, 0
	s_cmp_lg_u64 s[24:25], 0
	s_subb_u32 s19, s19, s21
	s_sub_u32 s22, s7, s20
	s_cselect_b64 s[26:27], -1, 0
	s_cmp_lg_u64 s[26:27], 0
	s_subb_u32 s28, s19, 0
	s_cmp_ge_u32 s28, s21
	s_cselect_b32 s29, -1, 0
	s_cmp_ge_u32 s22, s20
	s_cselect_b32 s30, -1, 0
	s_cmp_eq_u32 s28, s21
	s_cselect_b32 s29, s30, s29
	s_cmp_lg_u64 s[26:27], 0
	s_subb_u32 s19, s19, s21
	s_sub_u32 s30, s22, s20
	s_cselect_b64 s[26:27], -1, 0
	s_cmp_lg_u64 s[26:27], 0
	s_subb_u32 s19, s19, 0
	s_cmp_lg_u32 s29, 0
	s_cselect_b32 s22, s30, s22
	s_cselect_b32 s19, s19, s28
	s_cmp_lg_u64 s[24:25], 0
	s_subb_u32 s9, s23, s9
	s_cmp_ge_u32 s9, s21
	s_cselect_b32 s23, -1, 0
	s_cmp_ge_u32 s7, s20
	s_cselect_b32 s20, -1, 0
	s_cmp_eq_u32 s9, s21
	s_cselect_b32 s20, s20, s23
	s_cmp_lg_u32 s20, 0
	s_cselect_b32 s21, s19, s9
	s_cselect_b32 s20, s22, s7
	s_xor_b64 s[20:21], s[20:21], 0
	s_sub_u32 s28, s20, 0
	s_subb_u32 s29, s21, 0
	s_cbranch_execnz .LBB7_3
.LBB7_2:
	v_cvt_f32_u32_e32 v1, s18
	s_sub_i32 s2, 0, s18
	s_mov_b32 s29, 0
	v_rcp_iflag_f32_e32 v1, v1
	v_mul_f32_e32 v1, 0x4f7ffffe, v1
	v_cvt_u32_f32_e32 v1, v1
	v_readfirstlane_b32 s3, v1
	s_mul_i32 s2, s2, s3
	s_mul_hi_u32 s2, s3, s2
	s_add_i32 s3, s3, s2
	s_mul_hi_u32 s2, s10, s3
	s_mul_i32 s2, s2, s18
	s_sub_i32 s2, s10, s2
	s_sub_i32 s3, s2, s18
	s_cmp_ge_u32 s2, s18
	s_cselect_b32 s2, s3, s2
	s_sub_i32 s3, s2, s18
	s_cmp_ge_u32 s2, s18
	s_cselect_b32 s28, s3, s2
.LBB7_3:
	s_load_dwordx2 s[18:19], s[4:5], 0x90
	s_mov_b32 s2, 0
	s_mov_b32 s3, s1
	s_cmp_lg_u64 s[2:3], 0
	s_cbranch_scc0 .LBB7_11
; %bb.4:
	s_ashr_i32 s2, s1, 31
	s_add_u32 s20, s0, s2
	s_mov_b32 s3, s2
	s_addc_u32 s21, s1, s2
	s_xor_b64 s[20:21], s[20:21], s[2:3]
	v_cvt_f32_u32_e32 v1, s20
	v_cvt_f32_u32_e32 v2, s21
	s_sub_u32 s1, 0, s20
	s_subb_u32 s7, 0, s21
	v_madmk_f32 v1, v2, 0x4f800000, v1
	v_rcp_f32_e32 v1, v1
	v_mul_f32_e32 v1, 0x5f7ffffc, v1
	v_mul_f32_e32 v2, 0x2f800000, v1
	v_trunc_f32_e32 v2, v2
	v_madmk_f32 v1, v2, 0xcf800000, v1
	v_cvt_u32_f32_e32 v2, v2
	v_cvt_u32_f32_e32 v1, v1
	v_readfirstlane_b32 s9, v2
	v_readfirstlane_b32 s22, v1
	s_mul_i32 s23, s1, s9
	s_mul_hi_u32 s25, s1, s22
	s_mul_i32 s24, s7, s22
	s_add_i32 s23, s25, s23
	s_add_i32 s23, s23, s24
	s_mul_i32 s26, s1, s22
	s_mul_i32 s25, s22, s23
	s_mul_hi_u32 s27, s22, s26
	s_mul_hi_u32 s24, s22, s23
	s_add_u32 s25, s27, s25
	s_addc_u32 s24, 0, s24
	s_mul_hi_u32 s30, s9, s26
	s_mul_i32 s26, s9, s26
	s_add_u32 s25, s25, s26
	s_mul_hi_u32 s27, s9, s23
	s_addc_u32 s24, s24, s30
	s_addc_u32 s25, s27, 0
	s_mul_i32 s23, s9, s23
	s_add_u32 s23, s24, s23
	s_addc_u32 s24, 0, s25
	s_add_u32 s25, s22, s23
	s_cselect_b64 s[22:23], -1, 0
	s_cmp_lg_u64 s[22:23], 0
	s_addc_u32 s9, s9, s24
	s_mul_i32 s22, s1, s9
	s_mul_hi_u32 s23, s1, s25
	s_add_i32 s22, s23, s22
	s_mul_i32 s7, s7, s25
	s_add_i32 s22, s22, s7
	s_mul_i32 s1, s1, s25
	s_mul_hi_u32 s23, s9, s1
	s_mul_i32 s24, s9, s1
	s_mul_i32 s27, s25, s22
	s_mul_hi_u32 s1, s25, s1
	s_mul_hi_u32 s26, s25, s22
	s_add_u32 s1, s1, s27
	s_addc_u32 s26, 0, s26
	s_add_u32 s1, s1, s24
	s_mul_hi_u32 s7, s9, s22
	s_addc_u32 s1, s26, s23
	s_addc_u32 s7, s7, 0
	s_mul_i32 s22, s9, s22
	s_add_u32 s1, s1, s22
	s_addc_u32 s7, 0, s7
	s_add_u32 s1, s25, s1
	s_cselect_b64 s[22:23], -1, 0
	s_cmp_lg_u64 s[22:23], 0
	s_addc_u32 s7, s9, s7
	s_add_u32 s22, s8, 0
	s_addc_u32 s23, 0, 0
	s_xor_b64 s[22:23], s[22:23], 0
	s_mul_i32 s24, s22, s7
	s_mul_hi_u32 s25, s22, s1
	s_mul_hi_u32 s9, s22, s7
	s_add_u32 s24, s25, s24
	s_addc_u32 s9, 0, s9
	s_mul_hi_u32 s26, s23, s1
	s_mul_i32 s1, s23, s1
	s_add_u32 s1, s24, s1
	s_mul_hi_u32 s25, s23, s7
	s_addc_u32 s1, s9, s26
	s_addc_u32 s9, s25, 0
	s_mul_i32 s7, s23, s7
	s_add_u32 s1, s1, s7
	s_addc_u32 s7, 0, s9
	s_mul_i32 s7, s20, s7
	s_mul_hi_u32 s9, s20, s1
	s_add_i32 s7, s9, s7
	s_mul_i32 s9, s21, s1
	s_add_i32 s7, s7, s9
	s_sub_i32 s9, s23, s7
	s_mul_i32 s1, s20, s1
	s_sub_u32 s1, s22, s1
	s_cselect_b64 s[24:25], -1, 0
	s_cmp_lg_u64 s[24:25], 0
	s_subb_u32 s9, s9, s21
	s_sub_u32 s22, s1, s20
	s_cselect_b64 s[26:27], -1, 0
	s_cmp_lg_u64 s[26:27], 0
	s_subb_u32 s30, s9, 0
	s_cmp_ge_u32 s30, s21
	s_cselect_b32 s31, -1, 0
	s_cmp_ge_u32 s22, s20
	s_cselect_b32 s33, -1, 0
	s_cmp_eq_u32 s30, s21
	s_cselect_b32 s31, s33, s31
	s_cmp_lg_u64 s[26:27], 0
	s_subb_u32 s9, s9, s21
	s_sub_u32 s33, s22, s20
	s_cselect_b64 s[26:27], -1, 0
	s_cmp_lg_u64 s[26:27], 0
	s_subb_u32 s9, s9, 0
	s_cmp_lg_u32 s31, 0
	s_cselect_b32 s22, s33, s22
	s_cselect_b32 s9, s9, s30
	s_cmp_lg_u64 s[24:25], 0
	s_subb_u32 s7, s23, s7
	s_cmp_ge_u32 s7, s21
	s_cselect_b32 s23, -1, 0
	s_cmp_ge_u32 s1, s20
	s_cselect_b32 s20, -1, 0
	s_cmp_eq_u32 s7, s21
	s_cselect_b32 s20, s20, s23
	s_cmp_lg_u32 s20, 0
	s_cselect_b32 s21, s9, s7
	s_cselect_b32 s20, s22, s1
	s_xor_b64 s[20:21], s[20:21], 0
	s_sub_u32 s30, s20, 0
	s_subb_u32 s31, s21, 0
	s_cbranch_execnz .LBB7_6
.LBB7_5:
	v_cvt_f32_u32_e32 v1, s0
	s_sub_i32 s1, 0, s0
	s_mov_b32 s31, 0
	v_rcp_iflag_f32_e32 v1, v1
	v_mul_f32_e32 v1, 0x4f7ffffe, v1
	v_cvt_u32_f32_e32 v1, v1
	v_readfirstlane_b32 s2, v1
	s_mul_i32 s1, s1, s2
	s_mul_hi_u32 s1, s2, s1
	s_add_i32 s2, s2, s1
	s_mul_hi_u32 s1, s8, s2
	s_mul_i32 s1, s1, s0
	s_sub_i32 s1, s8, s1
	s_sub_i32 s2, s1, s0
	s_cmp_ge_u32 s1, s0
	s_cselect_b32 s1, s2, s1
	s_sub_i32 s2, s1, s0
	s_cmp_ge_u32 s1, s0
	s_cselect_b32 s30, s2, s1
.LBB7_6:
	s_load_dwordx2 s[34:35], s[4:5], 0xa0
	s_waitcnt lgkmcnt(0)
	v_cmp_le_f32_e64 s[0:1], s19, 0
	s_and_b64 vcc, exec, s[0:1]
	v_mov_b32_e32 v2, 1.0
	s_cbranch_vccnz .LBB7_8
; %bb.7:
	s_load_dword s2, s[4:5], 0x28
	s_load_dwordx2 s[0:1], s[4:5], 0x98
	s_add_i32 s3, s10, 1
	s_waitcnt lgkmcnt(0)
	s_sub_i32 s7, s10, s2
	v_mov_b32_e32 v2, s0
	s_lshl_b32 s0, s7, 1
	s_or_b32 s7, s0, 1
	s_cmp_lt_u32 s10, s2
	s_cselect_b64 vcc, -1, 0
	v_mov_b32_e32 v1, s1
	s_and_b64 s[0:1], vcc, exec
	s_cselect_b32 s0, s3, s7
	v_cndmask_b32_e32 v1, v1, v2, vcc
	v_cvt_f32_i32_e32 v2, s0
	v_cmp_neq_f32_e32 vcc, 1.0, v1
	s_mov_b32 s0, 0x3f2aaaab
	s_movk_i32 s2, 0x204
	v_cndmask_b32_e32 v2, 1.0, v2, vcc
	v_cmp_neq_f32_e32 vcc, 0, v2
	v_cndmask_b32_e32 v1, 1.0, v1, vcc
	v_frexp_mant_f32_e64 v3, |v1|
	v_cmp_gt_f32_e32 vcc, s0, v3
	v_cndmask_b32_e64 v4, 1.0, 2.0, vcc
	v_mul_f32_e32 v3, v3, v4
	v_add_f32_e32 v4, 1.0, v3
	v_rcp_f32_e32 v5, v4
	v_add_f32_e32 v6, -1.0, v3
	v_add_f32_e32 v7, -1.0, v4
	v_sub_f32_e32 v3, v3, v7
	v_mul_f32_e32 v7, v6, v5
	v_mul_f32_e32 v8, v4, v7
	v_fma_f32 v4, v7, v4, -v8
	v_fmac_f32_e32 v4, v7, v3
	v_add_f32_e32 v3, v8, v4
	v_sub_f32_e32 v9, v6, v3
	v_sub_f32_e32 v8, v3, v8
	;; [unrolled: 1-line block ×5, first 2 shown]
	v_add_f32_e32 v3, v4, v3
	v_add_f32_e32 v3, v9, v3
	v_mul_f32_e32 v3, v5, v3
	v_add_f32_e32 v5, v7, v3
	v_sub_f32_e32 v4, v5, v7
	v_sub_f32_e32 v6, v3, v4
	v_mul_f32_e32 v3, v5, v5
	v_fma_f32 v4, v5, v5, -v3
	v_add_f32_e32 v7, v6, v6
	v_fmac_f32_e32 v4, v5, v7
	v_add_f32_e32 v7, v3, v4
	v_mov_b32_e32 v8, 0x3e91f4c4
	v_sub_f32_e32 v3, v7, v3
	v_fmac_f32_e32 v8, 0x3e76c4e1, v7
	v_mov_b32_e32 v9, 0x3ecccdef
	v_sub_f32_e32 v3, v4, v3
	v_mul_f32_e32 v4, v5, v7
	v_fmac_f32_e32 v9, v7, v8
	v_fma_f32 v8, v7, v5, -v4
	v_fmac_f32_e32 v8, v7, v6
	v_fmac_f32_e32 v8, v3, v5
	v_add_f32_e32 v10, v4, v8
	v_sub_f32_e32 v4, v10, v4
	v_sub_f32_e32 v8, v8, v4
	v_mul_f32_e32 v4, v7, v9
	v_fma_f32 v7, v7, v9, -v4
	v_fmac_f32_e32 v7, v3, v9
	v_add_f32_e32 v9, v4, v7
	v_sub_f32_e32 v3, v9, v4
	v_sub_f32_e32 v7, v7, v3
	v_cvt_f64_f32_e64 v[3:4], |v1|
	v_add_f32_e32 v11, 0x3f2aaaaa, v9
	v_add_f32_e32 v12, 0xbf2aaaaa, v11
	;; [unrolled: 1-line block ×3, first 2 shown]
	v_frexp_exp_i32_f64_e32 v3, v[3:4]
	v_sub_f32_e32 v9, v9, v12
	v_add_f32_e32 v4, v7, v9
	v_add_f32_e32 v7, v11, v4
	v_sub_f32_e32 v9, v11, v7
	v_add_f32_e32 v4, v4, v9
	v_mul_f32_e32 v9, v10, v7
	v_fma_f32 v11, v10, v7, -v9
	v_subbrev_co_u32_e32 v3, vcc, 0, v3, vcc
	v_cvt_f32_i32_e32 v3, v3
	v_fmac_f32_e32 v11, v10, v4
	s_mov_b32 s0, 0x3f317218
	v_fmac_f32_e32 v11, v8, v7
	v_mul_f32_e32 v4, 0x3f317218, v3
	v_fma_f32 v7, v3, s0, -v4
	v_fmac_f32_e32 v7, 0xb102e308, v3
	v_ldexp_f32 v3, v6, 1
	v_add_f32_e32 v6, v4, v7
	v_sub_f32_e32 v4, v6, v4
	v_ldexp_f32 v5, v5, 1
	v_sub_f32_e32 v4, v7, v4
	v_add_f32_e32 v7, v9, v11
	v_sub_f32_e32 v8, v7, v9
	v_add_f32_e32 v9, v5, v7
	v_sub_f32_e32 v8, v11, v8
	v_sub_f32_e32 v5, v9, v5
	;; [unrolled: 1-line block ×3, first 2 shown]
	v_add_f32_e32 v3, v3, v8
	v_add_f32_e32 v3, v3, v5
	;; [unrolled: 1-line block ×3, first 2 shown]
	v_sub_f32_e32 v7, v5, v9
	v_sub_f32_e32 v3, v3, v7
	v_add_f32_e32 v7, v6, v5
	v_sub_f32_e32 v8, v7, v6
	v_sub_f32_e32 v9, v7, v8
	;; [unrolled: 1-line block ×4, first 2 shown]
	v_add_f32_e32 v5, v5, v6
	v_add_f32_e32 v6, v4, v3
	v_sub_f32_e32 v8, v6, v4
	v_sub_f32_e32 v9, v6, v8
	;; [unrolled: 1-line block ×4, first 2 shown]
	v_add_f32_e32 v3, v3, v4
	v_add_f32_e32 v4, v6, v5
	;; [unrolled: 1-line block ×3, first 2 shown]
	v_sub_f32_e32 v6, v5, v7
	v_sub_f32_e32 v4, v4, v6
	v_add_f32_e32 v3, v3, v4
	v_add_f32_e32 v4, v5, v3
	v_sub_f32_e32 v5, v4, v5
	v_sub_f32_e32 v3, v3, v5
	v_mul_f32_e32 v5, v2, v4
	v_fma_f32 v4, v2, v4, -v5
	v_fmac_f32_e32 v4, v2, v3
	v_add_f32_e32 v3, v5, v4
	v_cmp_class_f32_e64 vcc, v5, s2
	v_sub_f32_e32 v6, v3, v5
	v_cndmask_b32_e32 v3, v3, v5, vcc
	s_mov_b32 s1, 0x42b17218
	v_mov_b32_e32 v5, 0x37000000
	v_cmp_eq_f32_e32 vcc, s1, v3
	v_cndmask_b32_e32 v5, 0, v5, vcc
	v_sub_f32_e32 v4, v4, v6
	v_sub_f32_e32 v6, v3, v5
	s_mov_b32 s3, 0x3fb8aa3b
	v_mul_f32_e32 v7, 0x3fb8aa3b, v6
	v_fma_f32 v8, v6, s3, -v7
	v_rndne_f32_e32 v9, v7
	v_fmac_f32_e32 v8, 0x32a5705f, v6
	v_sub_f32_e32 v7, v7, v9
	v_add_f32_e32 v7, v7, v8
	v_exp_f32_e32 v7, v7
	v_cvt_i32_f32_e32 v8, v9
	s_mov_b32 s0, 0x7f800000
	v_cmp_neq_f32_e64 vcc, |v3|, s0
	s_mov_b32 s0, 0xc2ce8ed0
	v_cndmask_b32_e32 v3, 0, v4, vcc
	v_ldexp_f32 v4, v7, v8
	v_cmp_ngt_f32_e32 vcc, s0, v6
	v_add_f32_e32 v3, v5, v3
	v_cndmask_b32_e32 v4, 0, v4, vcc
	v_mov_b32_e32 v5, 0x7f800000
	v_cmp_nlt_f32_e32 vcc, s1, v6
	v_cndmask_b32_e32 v4, v5, v4, vcc
	v_fma_f32 v3, v4, v3, v4
	v_cmp_class_f32_e64 vcc, v4, s2
	v_cndmask_b32_e32 v3, v3, v4, vcc
	v_trunc_f32_e32 v4, v2
	v_cmp_eq_f32_e32 vcc, v4, v2
	v_mul_f32_e32 v4, 0.5, v2
	v_trunc_f32_e32 v7, v4
	v_cmp_neq_f32_e64 s[0:1], v7, v4
	s_and_b64 s[0:1], vcc, s[0:1]
	v_cndmask_b32_e64 v4, 1.0, v1, s[0:1]
	s_brev_b32 s7, -2
	v_mov_b32_e32 v6, 0x7fc00000
	v_bfi_b32 v3, s7, v3, v4
	v_cndmask_b32_e32 v4, v6, v3, vcc
	v_cmp_gt_f32_e32 vcc, 0, v1
	v_cndmask_b32_e32 v3, v3, v4, vcc
	v_cmp_class_f32_e64 s[20:21], v1, s2
	v_cmp_eq_f32_e32 vcc, 0, v1
	v_cmp_gt_f32_e64 s[2:3], 0, v2
	s_xor_b64 s[2:3], s[2:3], vcc
	v_cndmask_b32_e64 v2, v5, 0, s[2:3]
	v_cndmask_b32_e64 v4, 0, v1, s[0:1]
	v_bfi_b32 v2, s7, v2, v4
	s_or_b64 vcc, vcc, s[20:21]
	v_cndmask_b32_e32 v2, v3, v2, vcc
	v_cmp_o_f32_e32 vcc, v1, v1
	v_cndmask_b32_e32 v2, v6, v2, vcc
.LBB7_8:
	s_load_dwordx8 s[20:27], s[4:5], 0x0
	s_waitcnt lgkmcnt(0)
	s_cmp_lg_u64 s[24:25], 0
	s_cselect_b64 s[4:5], -1, 0
	s_cmp_eq_u64 s[24:25], 0
	s_cbranch_scc1 .LBB7_12
; %bb.9:
	s_lshl_b64 s[0:1], s[10:11], 2
	s_add_u32 s0, s24, s0
	s_addc_u32 s1, s25, s1
	s_load_dword s2, s[0:1], 0x0
	s_branch .LBB7_13
.LBB7_10:
                                        ; implicit-def: $sgpr28_sgpr29
	s_branch .LBB7_2
.LBB7_11:
                                        ; implicit-def: $sgpr30_sgpr31
	s_branch .LBB7_5
.LBB7_12:
	s_mov_b32 s2, 0xff800000
.LBB7_13:
	s_mul_i32 s0, s35, s8
	s_add_i32 s0, s0, s10
	s_mul_i32 s0, s0, s34
	s_add_i32 s8, s0, s6
	s_ashr_i32 s9, s8, 31
	s_lshl_b64 s[0:1], s[8:9], 11
	s_add_u32 s0, s20, s0
	s_addc_u32 s1, s21, s1
	v_lshlrev_b32_e32 v1, 2, v0
	global_load_dword v3, v1, s[0:1]
	s_cmp_eq_u64 s[22:23], 0
	s_cselect_b64 s[0:1], -1, 0
	s_cmp_lg_u64 s[22:23], 0
	v_mov_b32_e32 v8, 0
	s_cbranch_scc0 .LBB7_15
; %bb.14:
	s_mul_i32 s3, s13, s6
	s_mul_hi_u32 s7, s12, s6
	s_add_i32 s7, s7, s3
	s_mul_i32 s3, s12, s6
	s_mul_i32 s6, s28, s15
	s_mul_hi_u32 s12, s28, s14
	s_add_i32 s6, s12, s6
	s_mul_i32 s12, s29, s14
	s_add_i32 s6, s6, s12
	s_mul_i32 s12, s28, s14
	s_add_u32 s3, s12, s3
	s_addc_u32 s7, s6, s7
	s_mul_i32 s6, s30, s17
	s_mul_hi_u32 s12, s30, s16
	s_add_i32 s6, s12, s6
	s_mul_i32 s12, s31, s16
	s_add_i32 s12, s6, s12
	s_mul_i32 s6, s30, s16
	s_add_u32 s6, s3, s6
	s_addc_u32 s7, s7, s12
	s_lshr_b64 s[6:7], s[6:7], 1
	s_and_b64 s[0:1], s[0:1], exec
	s_cselect_b32 s1, 0, s7
	s_cselect_b32 s0, 0, s6
	s_lshl_b64 s[0:1], s[0:1], 1
	s_add_u32 s0, s22, s0
	s_addc_u32 s1, s23, s1
	v_lshlrev_b32_e32 v4, 1, v0
	global_load_ushort v4, v4, s[0:1]
	s_waitcnt vmcnt(0)
	v_cvt_f32_f16_e32 v4, v4
	v_mul_f32_e32 v8, v2, v4
.LBB7_15:
	s_waitcnt vmcnt(0)
	v_fmac_f32_e32 v8, s18, v3
	v_mbcnt_lo_u32_b32 v3, -1, 0
	v_mbcnt_hi_u32_b32 v7, -1, v3
	v_and_b32_e32 v3, 0x60, v7
	v_add_u32_e32 v10, 32, v3
	v_xor_b32_e32 v3, 16, v7
	v_cmp_lt_i32_e32 vcc, v3, v10
	s_waitcnt lgkmcnt(0)
	v_max_f32_e64 v2, s2, s2
	v_cndmask_b32_e32 v3, v7, v3, vcc
	v_max_f32_e32 v2, v2, v8
	v_lshlrev_b32_e32 v3, 2, v3
	ds_bpermute_b32 v4, v3, v2
	s_waitcnt lgkmcnt(0)
	v_max_f32_e32 v4, v4, v4
	v_max_f32_e32 v2, v2, v4
	v_xor_b32_e32 v4, 8, v7
	v_cmp_lt_i32_e32 vcc, v4, v10
	v_cndmask_b32_e32 v4, v7, v4, vcc
	v_lshlrev_b32_e32 v4, 2, v4
	ds_bpermute_b32 v5, v4, v2
	s_waitcnt lgkmcnt(0)
	v_max_f32_e32 v5, v5, v5
	v_max_f32_e32 v2, v2, v5
	v_xor_b32_e32 v5, 4, v7
	v_cmp_lt_i32_e32 vcc, v5, v10
	v_cndmask_b32_e32 v5, v7, v5, vcc
	;; [unrolled: 8-line block ×3, first 2 shown]
	v_lshlrev_b32_e32 v6, 2, v2
	ds_bpermute_b32 v11, v6, v9
	v_lshl_add_u32 v2, v0, 2, 0
	ds_write_b32 v2, v8 offset:128
	v_and_b32_e32 v8, 31, v0
	v_lshrrev_b32_e32 v0, 3, v0
	s_waitcnt lgkmcnt(1)
	v_max_f32_e32 v11, v11, v11
	v_max_f32_e32 v9, v9, v11
	v_xor_b32_e32 v11, 1, v7
	v_cmp_lt_i32_e32 vcc, v11, v10
	v_cndmask_b32_e32 v7, v7, v11, vcc
	v_lshlrev_b32_e32 v7, 2, v7
	ds_bpermute_b32 v10, v7, v9
	v_cmp_eq_u32_e32 vcc, 0, v8
	s_and_saveexec_b64 s[0:1], vcc
	s_xor_b64 s[0:1], exec, s[0:1]
	s_cbranch_execz .LBB7_17
; %bb.16:
	s_waitcnt lgkmcnt(0)
	v_max_f32_e32 v10, v10, v10
	v_max_f32_e32 v9, v9, v9
	;; [unrolled: 1-line block ×3, first 2 shown]
	v_add_u32_e32 v10, 0, v0
	ds_write_b32 v10, v9
.LBB7_17:
	s_or_b64 exec, exec, s[0:1]
	v_cmp_gt_u32_e64 s[0:1], 16, v8
	v_mov_b32_e32 v9, 0xff800000
	v_lshl_add_u32 v8, v8, 2, 0
	s_waitcnt lgkmcnt(0)
	s_barrier
	s_and_saveexec_b64 s[2:3], s[0:1]
; %bb.18:
	ds_read_b32 v9, v8
; %bb.19:
	s_or_b64 exec, exec, s[2:3]
	s_waitcnt lgkmcnt(0)
	ds_bpermute_b32 v10, v3, v9
	v_max_f32_e32 v9, v9, v9
	ds_read_b32 v11, v2 offset:128
	s_mov_b32 s2, 0x3fb8aa3b
	s_mov_b32 s6, 0x42b17218
	s_waitcnt lgkmcnt(1)
	v_max_f32_e32 v10, v10, v10
	v_max_f32_e32 v9, v9, v10
	ds_bpermute_b32 v10, v4, v9
	s_waitcnt lgkmcnt(0)
	v_max_f32_e32 v10, v10, v10
	v_max_f32_e32 v9, v9, v10
	ds_bpermute_b32 v10, v5, v9
	;; [unrolled: 4-line block ×4, first 2 shown]
	s_waitcnt lgkmcnt(0)
	v_max_f32_e32 v10, v10, v10
	v_max_f32_e32 v9, v9, v10
	v_sub_f32_e32 v10, v11, v9
	v_mul_f32_e32 v11, 0x3fb8aa3b, v10
	v_fma_f32 v12, v10, s2, -v11
	v_rndne_f32_e32 v13, v11
	v_fmac_f32_e32 v12, 0x32a5705f, v10
	v_sub_f32_e32 v11, v11, v13
	v_add_f32_e32 v11, v11, v12
	v_cvt_i32_f32_e32 v13, v13
	v_exp_f32_e32 v11, v11
	s_mov_b32 s2, 0xc2ce8ed0
	v_cmp_ngt_f32_e64 s[2:3], s2, v10
	v_mov_b32_e32 v12, 0x7f800000
	v_ldexp_f32 v11, v11, v13
	v_cndmask_b32_e64 v11, 0, v11, s[2:3]
	v_cmp_nlt_f32_e64 s[2:3], s6, v10
	v_cndmask_b32_e64 v12, v12, v11, s[2:3]
	ds_bpermute_b32 v10, v3, v12
	ds_write_b32 v2, v12 offset:128
	s_waitcnt lgkmcnt(1)
	v_add_f32_e32 v10, v12, v10
	ds_bpermute_b32 v11, v4, v10
	s_waitcnt lgkmcnt(0)
	v_add_f32_e32 v10, v10, v11
	ds_bpermute_b32 v11, v5, v10
	;; [unrolled: 3-line block ×4, first 2 shown]
	s_and_saveexec_b64 s[2:3], vcc
	s_cbranch_execz .LBB7_21
; %bb.20:
	s_waitcnt lgkmcnt(0)
	v_add_f32_e32 v10, v10, v11
	v_add_u32_e32 v0, 0, v0
	ds_write_b32 v0, v10
.LBB7_21:
	s_or_b64 exec, exec, s[2:3]
	v_mov_b32_e32 v0, 0
	s_waitcnt lgkmcnt(0)
	s_barrier
	s_and_saveexec_b64 s[2:3], s[0:1]
; %bb.22:
	ds_read_b32 v0, v8
; %bb.23:
	s_or_b64 exec, exec, s[2:3]
	s_waitcnt lgkmcnt(0)
	ds_bpermute_b32 v3, v3, v0
	s_lshl_b64 s[0:1], s[8:9], 9
	s_andn2_b64 vcc, exec, s[4:5]
	s_waitcnt lgkmcnt(0)
	v_add_f32_e32 v0, v0, v3
	ds_bpermute_b32 v3, v4, v0
	s_waitcnt lgkmcnt(0)
	v_add_f32_e32 v0, v0, v3
	ds_bpermute_b32 v3, v5, v0
	;; [unrolled: 3-line block ×4, first 2 shown]
	s_waitcnt lgkmcnt(0)
	v_add_f32_e32 v0, v0, v3
	s_cbranch_vccnz .LBB7_25
; %bb.24:
	s_lshl_b64 s[2:3], s[10:11], 2
	s_add_u32 s2, s24, s2
	s_addc_u32 s3, s25, s3
	s_load_dword s2, s[2:3], 0x0
	s_mov_b32 s3, 0x3fb8aa3b
	s_waitcnt lgkmcnt(0)
	v_sub_f32_e32 v3, s2, v9
	v_mul_f32_e32 v4, 0x3fb8aa3b, v3
	v_fma_f32 v5, v3, s3, -v4
	v_rndne_f32_e32 v6, v4
	v_fmac_f32_e32 v5, 0x32a5705f, v3
	v_sub_f32_e32 v4, v4, v6
	v_add_f32_e32 v4, v4, v5
	v_cvt_i32_f32_e32 v6, v6
	v_exp_f32_e32 v4, v4
	s_mov_b32 s2, 0xc2ce8ed0
	s_mov_b32 s3, 0x42b17218
	v_cmp_ngt_f32_e32 vcc, s2, v3
	v_ldexp_f32 v4, v4, v6
	v_cndmask_b32_e32 v4, 0, v4, vcc
	v_mov_b32_e32 v5, 0x7f800000
	v_cmp_nlt_f32_e32 vcc, s3, v3
	v_cndmask_b32_e32 v3, v5, v4, vcc
	v_add_f32_e32 v0, v0, v3
.LBB7_25:
	v_div_scale_f32 v3, s[2:3], v0, v0, 1.0
	v_div_scale_f32 v4, vcc, 1.0, v0, 1.0
	ds_read_b32 v2, v2 offset:128
	s_lshl_b64 s[0:1], s[0:1], 2
	s_add_u32 s0, s26, s0
	s_addc_u32 s1, s27, s1
	v_rcp_f32_e32 v5, v3
	v_fma_f32 v6, -v3, v5, 1.0
	v_fmac_f32_e32 v5, v6, v5
	v_mul_f32_e32 v6, v4, v5
	v_fma_f32 v7, -v3, v6, v4
	v_fmac_f32_e32 v6, v7, v5
	v_fma_f32 v3, -v3, v6, v4
	v_div_fmas_f32 v3, v3, v5, v6
	v_div_fixup_f32 v0, v3, v0, 1.0
	s_waitcnt lgkmcnt(0)
	v_mul_f32_e32 v0, v0, v2
	global_store_dword v1, v0, s[0:1]
	s_endpgm
	.section	.rodata,"a",@progbits
	.p2align	6, 0x0
	.amdhsa_kernel _ZL12soft_max_f32ILb1ELi512ELi512E6__halfEvPKfPKT2_S2_Pf15soft_max_params
		.amdhsa_group_segment_fixed_size 0
		.amdhsa_private_segment_fixed_size 0
		.amdhsa_kernarg_size 416
		.amdhsa_user_sgpr_count 6
		.amdhsa_user_sgpr_private_segment_buffer 1
		.amdhsa_user_sgpr_dispatch_ptr 0
		.amdhsa_user_sgpr_queue_ptr 0
		.amdhsa_user_sgpr_kernarg_segment_ptr 1
		.amdhsa_user_sgpr_dispatch_id 0
		.amdhsa_user_sgpr_flat_scratch_init 0
		.amdhsa_user_sgpr_private_segment_size 0
		.amdhsa_uses_dynamic_stack 0
		.amdhsa_system_sgpr_private_segment_wavefront_offset 0
		.amdhsa_system_sgpr_workgroup_id_x 1
		.amdhsa_system_sgpr_workgroup_id_y 1
		.amdhsa_system_sgpr_workgroup_id_z 1
		.amdhsa_system_sgpr_workgroup_info 0
		.amdhsa_system_vgpr_workitem_id 0
		.amdhsa_next_free_vgpr 14
		.amdhsa_next_free_sgpr 36
		.amdhsa_reserve_vcc 1
		.amdhsa_reserve_flat_scratch 0
		.amdhsa_float_round_mode_32 0
		.amdhsa_float_round_mode_16_64 0
		.amdhsa_float_denorm_mode_32 3
		.amdhsa_float_denorm_mode_16_64 3
		.amdhsa_dx10_clamp 1
		.amdhsa_ieee_mode 1
		.amdhsa_fp16_overflow 0
		.amdhsa_exception_fp_ieee_invalid_op 0
		.amdhsa_exception_fp_denorm_src 0
		.amdhsa_exception_fp_ieee_div_zero 0
		.amdhsa_exception_fp_ieee_overflow 0
		.amdhsa_exception_fp_ieee_underflow 0
		.amdhsa_exception_fp_ieee_inexact 0
		.amdhsa_exception_int_div_zero 0
	.end_amdhsa_kernel
	.section	.text._ZL12soft_max_f32ILb1ELi512ELi512E6__halfEvPKfPKT2_S2_Pf15soft_max_params,"axG",@progbits,_ZL12soft_max_f32ILb1ELi512ELi512E6__halfEvPKfPKT2_S2_Pf15soft_max_params,comdat
.Lfunc_end7:
	.size	_ZL12soft_max_f32ILb1ELi512ELi512E6__halfEvPKfPKT2_S2_Pf15soft_max_params, .Lfunc_end7-_ZL12soft_max_f32ILb1ELi512ELi512E6__halfEvPKfPKT2_S2_Pf15soft_max_params
                                        ; -- End function
	.set _ZL12soft_max_f32ILb1ELi512ELi512E6__halfEvPKfPKT2_S2_Pf15soft_max_params.num_vgpr, 14
	.set _ZL12soft_max_f32ILb1ELi512ELi512E6__halfEvPKfPKT2_S2_Pf15soft_max_params.num_agpr, 0
	.set _ZL12soft_max_f32ILb1ELi512ELi512E6__halfEvPKfPKT2_S2_Pf15soft_max_params.numbered_sgpr, 36
	.set _ZL12soft_max_f32ILb1ELi512ELi512E6__halfEvPKfPKT2_S2_Pf15soft_max_params.num_named_barrier, 0
	.set _ZL12soft_max_f32ILb1ELi512ELi512E6__halfEvPKfPKT2_S2_Pf15soft_max_params.private_seg_size, 0
	.set _ZL12soft_max_f32ILb1ELi512ELi512E6__halfEvPKfPKT2_S2_Pf15soft_max_params.uses_vcc, 1
	.set _ZL12soft_max_f32ILb1ELi512ELi512E6__halfEvPKfPKT2_S2_Pf15soft_max_params.uses_flat_scratch, 0
	.set _ZL12soft_max_f32ILb1ELi512ELi512E6__halfEvPKfPKT2_S2_Pf15soft_max_params.has_dyn_sized_stack, 0
	.set _ZL12soft_max_f32ILb1ELi512ELi512E6__halfEvPKfPKT2_S2_Pf15soft_max_params.has_recursion, 0
	.set _ZL12soft_max_f32ILb1ELi512ELi512E6__halfEvPKfPKT2_S2_Pf15soft_max_params.has_indirect_call, 0
	.section	.AMDGPU.csdata,"",@progbits
; Kernel info:
; codeLenInByte = 3592
; TotalNumSgprs: 40
; NumVgprs: 14
; ScratchSize: 0
; MemoryBound: 0
; FloatMode: 240
; IeeeMode: 1
; LDSByteSize: 0 bytes/workgroup (compile time only)
; SGPRBlocks: 4
; VGPRBlocks: 3
; NumSGPRsForWavesPerEU: 40
; NumVGPRsForWavesPerEU: 14
; Occupancy: 10
; WaveLimiterHint : 1
; COMPUTE_PGM_RSRC2:SCRATCH_EN: 0
; COMPUTE_PGM_RSRC2:USER_SGPR: 6
; COMPUTE_PGM_RSRC2:TRAP_HANDLER: 0
; COMPUTE_PGM_RSRC2:TGID_X_EN: 1
; COMPUTE_PGM_RSRC2:TGID_Y_EN: 1
; COMPUTE_PGM_RSRC2:TGID_Z_EN: 1
; COMPUTE_PGM_RSRC2:TIDIG_COMP_CNT: 0
	.section	.text._ZL12soft_max_f32ILb1ELi256ELi256E6__halfEvPKfPKT2_S2_Pf15soft_max_params,"axG",@progbits,_ZL12soft_max_f32ILb1ELi256ELi256E6__halfEvPKfPKT2_S2_Pf15soft_max_params,comdat
	.globl	_ZL12soft_max_f32ILb1ELi256ELi256E6__halfEvPKfPKT2_S2_Pf15soft_max_params ; -- Begin function _ZL12soft_max_f32ILb1ELi256ELi256E6__halfEvPKfPKT2_S2_Pf15soft_max_params
	.p2align	8
	.type	_ZL12soft_max_f32ILb1ELi256ELi256E6__halfEvPKfPKT2_S2_Pf15soft_max_params,@function
_ZL12soft_max_f32ILb1ELi256ELi256E6__halfEvPKfPKT2_S2_Pf15soft_max_params: ; @_ZL12soft_max_f32ILb1ELi256ELi256E6__halfEvPKfPKT2_S2_Pf15soft_max_params
; %bb.0:
	s_load_dwordx8 s[12:19], s[4:5], 0x68
	s_load_dwordx2 s[0:1], s[4:5], 0x88
	s_mov_b32 s11, 0
	s_mov_b32 s2, s11
	;; [unrolled: 1-line block ×3, first 2 shown]
	s_waitcnt lgkmcnt(0)
	s_mov_b32 s3, s19
	s_cmp_lg_u64 s[2:3], 0
	s_cbranch_scc0 .LBB8_10
; %bb.1:
	s_ashr_i32 s2, s19, 31
	s_add_u32 s20, s18, s2
	s_mov_b32 s3, s2
	s_addc_u32 s21, s19, s2
	s_xor_b64 s[20:21], s[20:21], s[2:3]
	v_cvt_f32_u32_e32 v1, s20
	v_cvt_f32_u32_e32 v2, s21
	s_sub_u32 s7, 0, s20
	s_subb_u32 s9, 0, s21
	v_madmk_f32 v1, v2, 0x4f800000, v1
	v_rcp_f32_e32 v1, v1
	v_mul_f32_e32 v1, 0x5f7ffffc, v1
	v_mul_f32_e32 v2, 0x2f800000, v1
	v_trunc_f32_e32 v2, v2
	v_madmk_f32 v1, v2, 0xcf800000, v1
	v_cvt_u32_f32_e32 v2, v2
	v_cvt_u32_f32_e32 v1, v1
	v_readfirstlane_b32 s19, v2
	v_readfirstlane_b32 s22, v1
	s_mul_i32 s23, s7, s19
	s_mul_hi_u32 s25, s7, s22
	s_mul_i32 s24, s9, s22
	s_add_i32 s23, s25, s23
	s_add_i32 s23, s23, s24
	s_mul_i32 s26, s7, s22
	s_mul_i32 s25, s22, s23
	s_mul_hi_u32 s27, s22, s26
	s_mul_hi_u32 s24, s22, s23
	s_add_u32 s25, s27, s25
	s_addc_u32 s24, 0, s24
	s_mul_hi_u32 s28, s19, s26
	s_mul_i32 s26, s19, s26
	s_add_u32 s25, s25, s26
	s_mul_hi_u32 s27, s19, s23
	s_addc_u32 s24, s24, s28
	s_addc_u32 s25, s27, 0
	s_mul_i32 s23, s19, s23
	s_add_u32 s23, s24, s23
	s_addc_u32 s24, 0, s25
	s_add_u32 s25, s22, s23
	s_cselect_b64 s[22:23], -1, 0
	s_cmp_lg_u64 s[22:23], 0
	s_addc_u32 s19, s19, s24
	s_mul_i32 s22, s7, s19
	s_mul_hi_u32 s23, s7, s25
	s_add_i32 s22, s23, s22
	s_mul_i32 s9, s9, s25
	s_add_i32 s22, s22, s9
	s_mul_i32 s7, s7, s25
	s_mul_hi_u32 s23, s19, s7
	s_mul_i32 s24, s19, s7
	s_mul_i32 s27, s25, s22
	s_mul_hi_u32 s7, s25, s7
	s_mul_hi_u32 s26, s25, s22
	s_add_u32 s7, s7, s27
	s_addc_u32 s26, 0, s26
	s_add_u32 s7, s7, s24
	s_mul_hi_u32 s9, s19, s22
	s_addc_u32 s7, s26, s23
	s_addc_u32 s9, s9, 0
	s_mul_i32 s22, s19, s22
	s_add_u32 s7, s7, s22
	s_addc_u32 s9, 0, s9
	s_add_u32 s7, s25, s7
	s_cselect_b64 s[22:23], -1, 0
	s_cmp_lg_u64 s[22:23], 0
	s_addc_u32 s9, s19, s9
	s_add_u32 s22, s10, 0
	s_addc_u32 s23, 0, 0
	s_xor_b64 s[22:23], s[22:23], 0
	s_mul_i32 s24, s22, s9
	s_mul_hi_u32 s25, s22, s7
	s_mul_hi_u32 s19, s22, s9
	s_add_u32 s24, s25, s24
	s_addc_u32 s19, 0, s19
	s_mul_hi_u32 s26, s23, s7
	s_mul_i32 s7, s23, s7
	s_add_u32 s7, s24, s7
	s_mul_hi_u32 s25, s23, s9
	s_addc_u32 s7, s19, s26
	s_addc_u32 s19, s25, 0
	s_mul_i32 s9, s23, s9
	s_add_u32 s7, s7, s9
	s_addc_u32 s9, 0, s19
	s_mul_i32 s9, s20, s9
	s_mul_hi_u32 s19, s20, s7
	s_add_i32 s9, s19, s9
	s_mul_i32 s19, s21, s7
	s_add_i32 s9, s9, s19
	s_sub_i32 s19, s23, s9
	s_mul_i32 s7, s20, s7
	s_sub_u32 s7, s22, s7
	s_cselect_b64 s[24:25], -1, 0
	s_cmp_lg_u64 s[24:25], 0
	s_subb_u32 s19, s19, s21
	s_sub_u32 s22, s7, s20
	s_cselect_b64 s[26:27], -1, 0
	s_cmp_lg_u64 s[26:27], 0
	s_subb_u32 s28, s19, 0
	s_cmp_ge_u32 s28, s21
	s_cselect_b32 s29, -1, 0
	s_cmp_ge_u32 s22, s20
	s_cselect_b32 s30, -1, 0
	s_cmp_eq_u32 s28, s21
	s_cselect_b32 s29, s30, s29
	s_cmp_lg_u64 s[26:27], 0
	s_subb_u32 s19, s19, s21
	s_sub_u32 s30, s22, s20
	s_cselect_b64 s[26:27], -1, 0
	s_cmp_lg_u64 s[26:27], 0
	s_subb_u32 s19, s19, 0
	s_cmp_lg_u32 s29, 0
	s_cselect_b32 s22, s30, s22
	s_cselect_b32 s19, s19, s28
	s_cmp_lg_u64 s[24:25], 0
	s_subb_u32 s9, s23, s9
	s_cmp_ge_u32 s9, s21
	s_cselect_b32 s23, -1, 0
	s_cmp_ge_u32 s7, s20
	s_cselect_b32 s20, -1, 0
	s_cmp_eq_u32 s9, s21
	s_cselect_b32 s20, s20, s23
	s_cmp_lg_u32 s20, 0
	s_cselect_b32 s21, s19, s9
	s_cselect_b32 s20, s22, s7
	s_xor_b64 s[20:21], s[20:21], 0
	s_sub_u32 s28, s20, 0
	s_subb_u32 s29, s21, 0
	s_cbranch_execnz .LBB8_3
.LBB8_2:
	v_cvt_f32_u32_e32 v1, s18
	s_sub_i32 s2, 0, s18
	s_mov_b32 s29, 0
	v_rcp_iflag_f32_e32 v1, v1
	v_mul_f32_e32 v1, 0x4f7ffffe, v1
	v_cvt_u32_f32_e32 v1, v1
	v_readfirstlane_b32 s3, v1
	s_mul_i32 s2, s2, s3
	s_mul_hi_u32 s2, s3, s2
	s_add_i32 s3, s3, s2
	s_mul_hi_u32 s2, s10, s3
	s_mul_i32 s2, s2, s18
	s_sub_i32 s2, s10, s2
	s_sub_i32 s3, s2, s18
	s_cmp_ge_u32 s2, s18
	s_cselect_b32 s2, s3, s2
	s_sub_i32 s3, s2, s18
	s_cmp_ge_u32 s2, s18
	s_cselect_b32 s28, s3, s2
.LBB8_3:
	s_load_dwordx2 s[18:19], s[4:5], 0x90
	s_mov_b32 s2, 0
	s_mov_b32 s3, s1
	s_cmp_lg_u64 s[2:3], 0
	s_cbranch_scc0 .LBB8_11
; %bb.4:
	s_ashr_i32 s2, s1, 31
	s_add_u32 s20, s0, s2
	s_mov_b32 s3, s2
	s_addc_u32 s21, s1, s2
	s_xor_b64 s[20:21], s[20:21], s[2:3]
	v_cvt_f32_u32_e32 v1, s20
	v_cvt_f32_u32_e32 v2, s21
	s_sub_u32 s1, 0, s20
	s_subb_u32 s7, 0, s21
	v_madmk_f32 v1, v2, 0x4f800000, v1
	v_rcp_f32_e32 v1, v1
	v_mul_f32_e32 v1, 0x5f7ffffc, v1
	v_mul_f32_e32 v2, 0x2f800000, v1
	v_trunc_f32_e32 v2, v2
	v_madmk_f32 v1, v2, 0xcf800000, v1
	v_cvt_u32_f32_e32 v2, v2
	v_cvt_u32_f32_e32 v1, v1
	v_readfirstlane_b32 s9, v2
	v_readfirstlane_b32 s22, v1
	s_mul_i32 s23, s1, s9
	s_mul_hi_u32 s25, s1, s22
	s_mul_i32 s24, s7, s22
	s_add_i32 s23, s25, s23
	s_add_i32 s23, s23, s24
	s_mul_i32 s26, s1, s22
	s_mul_i32 s25, s22, s23
	s_mul_hi_u32 s27, s22, s26
	s_mul_hi_u32 s24, s22, s23
	s_add_u32 s25, s27, s25
	s_addc_u32 s24, 0, s24
	s_mul_hi_u32 s30, s9, s26
	s_mul_i32 s26, s9, s26
	s_add_u32 s25, s25, s26
	s_mul_hi_u32 s27, s9, s23
	s_addc_u32 s24, s24, s30
	s_addc_u32 s25, s27, 0
	s_mul_i32 s23, s9, s23
	s_add_u32 s23, s24, s23
	s_addc_u32 s24, 0, s25
	s_add_u32 s25, s22, s23
	s_cselect_b64 s[22:23], -1, 0
	s_cmp_lg_u64 s[22:23], 0
	s_addc_u32 s9, s9, s24
	s_mul_i32 s22, s1, s9
	s_mul_hi_u32 s23, s1, s25
	s_add_i32 s22, s23, s22
	s_mul_i32 s7, s7, s25
	s_add_i32 s22, s22, s7
	s_mul_i32 s1, s1, s25
	s_mul_hi_u32 s23, s9, s1
	s_mul_i32 s24, s9, s1
	s_mul_i32 s27, s25, s22
	s_mul_hi_u32 s1, s25, s1
	s_mul_hi_u32 s26, s25, s22
	s_add_u32 s1, s1, s27
	s_addc_u32 s26, 0, s26
	s_add_u32 s1, s1, s24
	s_mul_hi_u32 s7, s9, s22
	s_addc_u32 s1, s26, s23
	s_addc_u32 s7, s7, 0
	s_mul_i32 s22, s9, s22
	s_add_u32 s1, s1, s22
	s_addc_u32 s7, 0, s7
	s_add_u32 s1, s25, s1
	s_cselect_b64 s[22:23], -1, 0
	s_cmp_lg_u64 s[22:23], 0
	s_addc_u32 s7, s9, s7
	s_add_u32 s22, s8, 0
	s_addc_u32 s23, 0, 0
	s_xor_b64 s[22:23], s[22:23], 0
	s_mul_i32 s24, s22, s7
	s_mul_hi_u32 s25, s22, s1
	s_mul_hi_u32 s9, s22, s7
	s_add_u32 s24, s25, s24
	s_addc_u32 s9, 0, s9
	s_mul_hi_u32 s26, s23, s1
	s_mul_i32 s1, s23, s1
	s_add_u32 s1, s24, s1
	s_mul_hi_u32 s25, s23, s7
	s_addc_u32 s1, s9, s26
	s_addc_u32 s9, s25, 0
	s_mul_i32 s7, s23, s7
	s_add_u32 s1, s1, s7
	s_addc_u32 s7, 0, s9
	s_mul_i32 s7, s20, s7
	s_mul_hi_u32 s9, s20, s1
	s_add_i32 s7, s9, s7
	s_mul_i32 s9, s21, s1
	s_add_i32 s7, s7, s9
	s_sub_i32 s9, s23, s7
	s_mul_i32 s1, s20, s1
	s_sub_u32 s1, s22, s1
	s_cselect_b64 s[24:25], -1, 0
	s_cmp_lg_u64 s[24:25], 0
	s_subb_u32 s9, s9, s21
	s_sub_u32 s22, s1, s20
	s_cselect_b64 s[26:27], -1, 0
	s_cmp_lg_u64 s[26:27], 0
	s_subb_u32 s30, s9, 0
	s_cmp_ge_u32 s30, s21
	s_cselect_b32 s31, -1, 0
	s_cmp_ge_u32 s22, s20
	s_cselect_b32 s33, -1, 0
	s_cmp_eq_u32 s30, s21
	s_cselect_b32 s31, s33, s31
	s_cmp_lg_u64 s[26:27], 0
	s_subb_u32 s9, s9, s21
	s_sub_u32 s33, s22, s20
	s_cselect_b64 s[26:27], -1, 0
	s_cmp_lg_u64 s[26:27], 0
	s_subb_u32 s9, s9, 0
	s_cmp_lg_u32 s31, 0
	s_cselect_b32 s22, s33, s22
	s_cselect_b32 s9, s9, s30
	s_cmp_lg_u64 s[24:25], 0
	s_subb_u32 s7, s23, s7
	s_cmp_ge_u32 s7, s21
	s_cselect_b32 s23, -1, 0
	s_cmp_ge_u32 s1, s20
	s_cselect_b32 s20, -1, 0
	s_cmp_eq_u32 s7, s21
	s_cselect_b32 s20, s20, s23
	s_cmp_lg_u32 s20, 0
	s_cselect_b32 s21, s9, s7
	s_cselect_b32 s20, s22, s1
	s_xor_b64 s[20:21], s[20:21], 0
	s_sub_u32 s30, s20, 0
	s_subb_u32 s31, s21, 0
	s_cbranch_execnz .LBB8_6
.LBB8_5:
	v_cvt_f32_u32_e32 v1, s0
	s_sub_i32 s1, 0, s0
	s_mov_b32 s31, 0
	v_rcp_iflag_f32_e32 v1, v1
	v_mul_f32_e32 v1, 0x4f7ffffe, v1
	v_cvt_u32_f32_e32 v1, v1
	v_readfirstlane_b32 s2, v1
	s_mul_i32 s1, s1, s2
	s_mul_hi_u32 s1, s2, s1
	s_add_i32 s2, s2, s1
	s_mul_hi_u32 s1, s8, s2
	s_mul_i32 s1, s1, s0
	s_sub_i32 s1, s8, s1
	s_sub_i32 s2, s1, s0
	s_cmp_ge_u32 s1, s0
	s_cselect_b32 s1, s2, s1
	s_sub_i32 s2, s1, s0
	s_cmp_ge_u32 s1, s0
	s_cselect_b32 s30, s2, s1
.LBB8_6:
	s_load_dwordx2 s[34:35], s[4:5], 0xa0
	s_waitcnt lgkmcnt(0)
	v_cmp_le_f32_e64 s[0:1], s19, 0
	s_and_b64 vcc, exec, s[0:1]
	v_mov_b32_e32 v2, 1.0
	s_cbranch_vccnz .LBB8_8
; %bb.7:
	s_load_dword s2, s[4:5], 0x28
	s_load_dwordx2 s[0:1], s[4:5], 0x98
	s_add_i32 s3, s10, 1
	s_waitcnt lgkmcnt(0)
	s_sub_i32 s7, s10, s2
	v_mov_b32_e32 v2, s0
	s_lshl_b32 s0, s7, 1
	s_or_b32 s7, s0, 1
	s_cmp_lt_u32 s10, s2
	s_cselect_b64 vcc, -1, 0
	v_mov_b32_e32 v1, s1
	s_and_b64 s[0:1], vcc, exec
	s_cselect_b32 s0, s3, s7
	v_cndmask_b32_e32 v1, v1, v2, vcc
	v_cvt_f32_i32_e32 v2, s0
	v_cmp_neq_f32_e32 vcc, 1.0, v1
	s_mov_b32 s0, 0x3f2aaaab
	s_movk_i32 s2, 0x204
	v_cndmask_b32_e32 v2, 1.0, v2, vcc
	v_cmp_neq_f32_e32 vcc, 0, v2
	v_cndmask_b32_e32 v1, 1.0, v1, vcc
	v_frexp_mant_f32_e64 v3, |v1|
	v_cmp_gt_f32_e32 vcc, s0, v3
	v_cndmask_b32_e64 v4, 1.0, 2.0, vcc
	v_mul_f32_e32 v3, v3, v4
	v_add_f32_e32 v4, 1.0, v3
	v_rcp_f32_e32 v5, v4
	v_add_f32_e32 v6, -1.0, v3
	v_add_f32_e32 v7, -1.0, v4
	v_sub_f32_e32 v3, v3, v7
	v_mul_f32_e32 v7, v6, v5
	v_mul_f32_e32 v8, v4, v7
	v_fma_f32 v4, v7, v4, -v8
	v_fmac_f32_e32 v4, v7, v3
	v_add_f32_e32 v3, v8, v4
	v_sub_f32_e32 v9, v6, v3
	v_sub_f32_e32 v8, v3, v8
	v_sub_f32_e32 v6, v6, v9
	v_sub_f32_e32 v3, v6, v3
	v_sub_f32_e32 v4, v8, v4
	v_add_f32_e32 v3, v4, v3
	v_add_f32_e32 v3, v9, v3
	v_mul_f32_e32 v3, v5, v3
	v_add_f32_e32 v5, v7, v3
	v_sub_f32_e32 v4, v5, v7
	v_sub_f32_e32 v6, v3, v4
	v_mul_f32_e32 v3, v5, v5
	v_fma_f32 v4, v5, v5, -v3
	v_add_f32_e32 v7, v6, v6
	v_fmac_f32_e32 v4, v5, v7
	v_add_f32_e32 v7, v3, v4
	v_mov_b32_e32 v8, 0x3e91f4c4
	v_sub_f32_e32 v3, v7, v3
	v_fmac_f32_e32 v8, 0x3e76c4e1, v7
	v_mov_b32_e32 v9, 0x3ecccdef
	v_sub_f32_e32 v3, v4, v3
	v_mul_f32_e32 v4, v5, v7
	v_fmac_f32_e32 v9, v7, v8
	v_fma_f32 v8, v7, v5, -v4
	v_fmac_f32_e32 v8, v7, v6
	v_fmac_f32_e32 v8, v3, v5
	v_add_f32_e32 v10, v4, v8
	v_sub_f32_e32 v4, v10, v4
	v_sub_f32_e32 v8, v8, v4
	v_mul_f32_e32 v4, v7, v9
	v_fma_f32 v7, v7, v9, -v4
	v_fmac_f32_e32 v7, v3, v9
	v_add_f32_e32 v9, v4, v7
	v_sub_f32_e32 v3, v9, v4
	v_sub_f32_e32 v7, v7, v3
	v_cvt_f64_f32_e64 v[3:4], |v1|
	v_add_f32_e32 v11, 0x3f2aaaaa, v9
	v_add_f32_e32 v12, 0xbf2aaaaa, v11
	;; [unrolled: 1-line block ×3, first 2 shown]
	v_frexp_exp_i32_f64_e32 v3, v[3:4]
	v_sub_f32_e32 v9, v9, v12
	v_add_f32_e32 v4, v7, v9
	v_add_f32_e32 v7, v11, v4
	v_sub_f32_e32 v9, v11, v7
	v_add_f32_e32 v4, v4, v9
	v_mul_f32_e32 v9, v10, v7
	v_fma_f32 v11, v10, v7, -v9
	v_subbrev_co_u32_e32 v3, vcc, 0, v3, vcc
	v_cvt_f32_i32_e32 v3, v3
	v_fmac_f32_e32 v11, v10, v4
	s_mov_b32 s0, 0x3f317218
	v_fmac_f32_e32 v11, v8, v7
	v_mul_f32_e32 v4, 0x3f317218, v3
	v_fma_f32 v7, v3, s0, -v4
	v_fmac_f32_e32 v7, 0xb102e308, v3
	v_ldexp_f32 v3, v6, 1
	v_add_f32_e32 v6, v4, v7
	v_sub_f32_e32 v4, v6, v4
	v_ldexp_f32 v5, v5, 1
	v_sub_f32_e32 v4, v7, v4
	v_add_f32_e32 v7, v9, v11
	v_sub_f32_e32 v8, v7, v9
	v_add_f32_e32 v9, v5, v7
	v_sub_f32_e32 v8, v11, v8
	v_sub_f32_e32 v5, v9, v5
	;; [unrolled: 1-line block ×3, first 2 shown]
	v_add_f32_e32 v3, v3, v8
	v_add_f32_e32 v3, v3, v5
	;; [unrolled: 1-line block ×3, first 2 shown]
	v_sub_f32_e32 v7, v5, v9
	v_sub_f32_e32 v3, v3, v7
	v_add_f32_e32 v7, v6, v5
	v_sub_f32_e32 v8, v7, v6
	v_sub_f32_e32 v9, v7, v8
	v_sub_f32_e32 v6, v6, v9
	v_sub_f32_e32 v5, v5, v8
	v_add_f32_e32 v5, v5, v6
	v_add_f32_e32 v6, v4, v3
	v_sub_f32_e32 v8, v6, v4
	v_sub_f32_e32 v9, v6, v8
	v_sub_f32_e32 v4, v4, v9
	v_sub_f32_e32 v3, v3, v8
	v_add_f32_e32 v3, v3, v4
	v_add_f32_e32 v4, v6, v5
	;; [unrolled: 1-line block ×3, first 2 shown]
	v_sub_f32_e32 v6, v5, v7
	v_sub_f32_e32 v4, v4, v6
	v_add_f32_e32 v3, v3, v4
	v_add_f32_e32 v4, v5, v3
	v_sub_f32_e32 v5, v4, v5
	v_sub_f32_e32 v3, v3, v5
	v_mul_f32_e32 v5, v2, v4
	v_fma_f32 v4, v2, v4, -v5
	v_fmac_f32_e32 v4, v2, v3
	v_add_f32_e32 v3, v5, v4
	v_cmp_class_f32_e64 vcc, v5, s2
	v_sub_f32_e32 v6, v3, v5
	v_cndmask_b32_e32 v3, v3, v5, vcc
	s_mov_b32 s1, 0x42b17218
	v_mov_b32_e32 v5, 0x37000000
	v_cmp_eq_f32_e32 vcc, s1, v3
	v_cndmask_b32_e32 v5, 0, v5, vcc
	v_sub_f32_e32 v4, v4, v6
	v_sub_f32_e32 v6, v3, v5
	s_mov_b32 s3, 0x3fb8aa3b
	v_mul_f32_e32 v7, 0x3fb8aa3b, v6
	v_fma_f32 v8, v6, s3, -v7
	v_rndne_f32_e32 v9, v7
	v_fmac_f32_e32 v8, 0x32a5705f, v6
	v_sub_f32_e32 v7, v7, v9
	v_add_f32_e32 v7, v7, v8
	v_exp_f32_e32 v7, v7
	v_cvt_i32_f32_e32 v8, v9
	s_mov_b32 s0, 0x7f800000
	v_cmp_neq_f32_e64 vcc, |v3|, s0
	s_mov_b32 s0, 0xc2ce8ed0
	v_cndmask_b32_e32 v3, 0, v4, vcc
	v_ldexp_f32 v4, v7, v8
	v_cmp_ngt_f32_e32 vcc, s0, v6
	v_add_f32_e32 v3, v5, v3
	v_cndmask_b32_e32 v4, 0, v4, vcc
	v_mov_b32_e32 v5, 0x7f800000
	v_cmp_nlt_f32_e32 vcc, s1, v6
	v_cndmask_b32_e32 v4, v5, v4, vcc
	v_fma_f32 v3, v4, v3, v4
	v_cmp_class_f32_e64 vcc, v4, s2
	v_cndmask_b32_e32 v3, v3, v4, vcc
	v_trunc_f32_e32 v4, v2
	v_cmp_eq_f32_e32 vcc, v4, v2
	v_mul_f32_e32 v4, 0.5, v2
	v_trunc_f32_e32 v7, v4
	v_cmp_neq_f32_e64 s[0:1], v7, v4
	s_and_b64 s[0:1], vcc, s[0:1]
	v_cndmask_b32_e64 v4, 1.0, v1, s[0:1]
	s_brev_b32 s7, -2
	v_mov_b32_e32 v6, 0x7fc00000
	v_bfi_b32 v3, s7, v3, v4
	v_cndmask_b32_e32 v4, v6, v3, vcc
	v_cmp_gt_f32_e32 vcc, 0, v1
	v_cndmask_b32_e32 v3, v3, v4, vcc
	v_cmp_class_f32_e64 s[20:21], v1, s2
	v_cmp_eq_f32_e32 vcc, 0, v1
	v_cmp_gt_f32_e64 s[2:3], 0, v2
	s_xor_b64 s[2:3], s[2:3], vcc
	v_cndmask_b32_e64 v2, v5, 0, s[2:3]
	v_cndmask_b32_e64 v4, 0, v1, s[0:1]
	v_bfi_b32 v2, s7, v2, v4
	s_or_b64 vcc, vcc, s[20:21]
	v_cndmask_b32_e32 v2, v3, v2, vcc
	v_cmp_o_f32_e32 vcc, v1, v1
	v_cndmask_b32_e32 v2, v6, v2, vcc
.LBB8_8:
	s_load_dwordx8 s[20:27], s[4:5], 0x0
	s_waitcnt lgkmcnt(0)
	s_cmp_lg_u64 s[24:25], 0
	s_cselect_b64 s[4:5], -1, 0
	s_cmp_eq_u64 s[24:25], 0
	s_cbranch_scc1 .LBB8_12
; %bb.9:
	s_lshl_b64 s[0:1], s[10:11], 2
	s_add_u32 s0, s24, s0
	s_addc_u32 s1, s25, s1
	s_load_dword s2, s[0:1], 0x0
	s_branch .LBB8_13
.LBB8_10:
                                        ; implicit-def: $sgpr28_sgpr29
	s_branch .LBB8_2
.LBB8_11:
                                        ; implicit-def: $sgpr30_sgpr31
	s_branch .LBB8_5
.LBB8_12:
	s_mov_b32 s2, 0xff800000
.LBB8_13:
	s_mul_i32 s0, s35, s8
	s_add_i32 s0, s0, s10
	s_mul_i32 s0, s0, s34
	s_add_i32 s8, s0, s6
	s_ashr_i32 s9, s8, 31
	s_lshl_b64 s[0:1], s[8:9], 10
	s_add_u32 s0, s20, s0
	s_addc_u32 s1, s21, s1
	v_lshlrev_b32_e32 v1, 2, v0
	global_load_dword v3, v1, s[0:1]
	s_cmp_eq_u64 s[22:23], 0
	s_cselect_b64 s[0:1], -1, 0
	s_cmp_lg_u64 s[22:23], 0
	v_mov_b32_e32 v8, 0
	s_cbranch_scc0 .LBB8_15
; %bb.14:
	s_mul_i32 s3, s13, s6
	s_mul_hi_u32 s7, s12, s6
	s_add_i32 s7, s7, s3
	s_mul_i32 s3, s12, s6
	s_mul_i32 s6, s28, s15
	s_mul_hi_u32 s12, s28, s14
	s_add_i32 s6, s12, s6
	s_mul_i32 s12, s29, s14
	s_add_i32 s6, s6, s12
	s_mul_i32 s12, s28, s14
	s_add_u32 s3, s12, s3
	s_addc_u32 s7, s6, s7
	s_mul_i32 s6, s30, s17
	s_mul_hi_u32 s12, s30, s16
	s_add_i32 s6, s12, s6
	s_mul_i32 s12, s31, s16
	s_add_i32 s12, s6, s12
	s_mul_i32 s6, s30, s16
	s_add_u32 s6, s3, s6
	s_addc_u32 s7, s7, s12
	s_lshr_b64 s[6:7], s[6:7], 1
	s_and_b64 s[0:1], s[0:1], exec
	s_cselect_b32 s1, 0, s7
	s_cselect_b32 s0, 0, s6
	s_lshl_b64 s[0:1], s[0:1], 1
	s_add_u32 s0, s22, s0
	s_addc_u32 s1, s23, s1
	v_lshlrev_b32_e32 v4, 1, v0
	global_load_ushort v4, v4, s[0:1]
	s_waitcnt vmcnt(0)
	v_cvt_f32_f16_e32 v4, v4
	v_mul_f32_e32 v8, v2, v4
.LBB8_15:
	s_waitcnt vmcnt(0)
	v_fmac_f32_e32 v8, s18, v3
	v_mbcnt_lo_u32_b32 v3, -1, 0
	v_mbcnt_hi_u32_b32 v7, -1, v3
	v_and_b32_e32 v3, 0x60, v7
	v_add_u32_e32 v10, 32, v3
	v_xor_b32_e32 v3, 16, v7
	v_cmp_lt_i32_e32 vcc, v3, v10
	s_waitcnt lgkmcnt(0)
	v_max_f32_e64 v2, s2, s2
	v_cndmask_b32_e32 v3, v7, v3, vcc
	v_max_f32_e32 v2, v2, v8
	v_lshlrev_b32_e32 v3, 2, v3
	ds_bpermute_b32 v4, v3, v2
	s_waitcnt lgkmcnt(0)
	v_max_f32_e32 v4, v4, v4
	v_max_f32_e32 v2, v2, v4
	v_xor_b32_e32 v4, 8, v7
	v_cmp_lt_i32_e32 vcc, v4, v10
	v_cndmask_b32_e32 v4, v7, v4, vcc
	v_lshlrev_b32_e32 v4, 2, v4
	ds_bpermute_b32 v5, v4, v2
	s_waitcnt lgkmcnt(0)
	v_max_f32_e32 v5, v5, v5
	v_max_f32_e32 v2, v2, v5
	v_xor_b32_e32 v5, 4, v7
	v_cmp_lt_i32_e32 vcc, v5, v10
	v_cndmask_b32_e32 v5, v7, v5, vcc
	;; [unrolled: 8-line block ×3, first 2 shown]
	v_lshlrev_b32_e32 v6, 2, v2
	ds_bpermute_b32 v11, v6, v9
	v_lshl_add_u32 v2, v0, 2, 0
	ds_write_b32 v2, v8 offset:128
	v_and_b32_e32 v8, 31, v0
	v_lshrrev_b32_e32 v0, 3, v0
	s_waitcnt lgkmcnt(1)
	v_max_f32_e32 v11, v11, v11
	v_max_f32_e32 v9, v9, v11
	v_xor_b32_e32 v11, 1, v7
	v_cmp_lt_i32_e32 vcc, v11, v10
	v_cndmask_b32_e32 v7, v7, v11, vcc
	v_lshlrev_b32_e32 v7, 2, v7
	ds_bpermute_b32 v10, v7, v9
	v_cmp_eq_u32_e32 vcc, 0, v8
	s_and_saveexec_b64 s[0:1], vcc
	s_xor_b64 s[0:1], exec, s[0:1]
	s_cbranch_execz .LBB8_17
; %bb.16:
	s_waitcnt lgkmcnt(0)
	v_max_f32_e32 v10, v10, v10
	v_max_f32_e32 v9, v9, v9
	v_max_f32_e32 v9, v9, v10
	v_add_u32_e32 v10, 0, v0
	ds_write_b32 v10, v9
.LBB8_17:
	s_or_b64 exec, exec, s[0:1]
	v_cmp_gt_u32_e64 s[0:1], 8, v8
	v_mov_b32_e32 v9, 0xff800000
	v_lshl_add_u32 v8, v8, 2, 0
	s_waitcnt lgkmcnt(0)
	s_barrier
	s_and_saveexec_b64 s[2:3], s[0:1]
; %bb.18:
	ds_read_b32 v9, v8
; %bb.19:
	s_or_b64 exec, exec, s[2:3]
	s_waitcnt lgkmcnt(0)
	ds_bpermute_b32 v10, v3, v9
	v_max_f32_e32 v9, v9, v9
	ds_read_b32 v11, v2 offset:128
	s_mov_b32 s2, 0x3fb8aa3b
	s_mov_b32 s6, 0x42b17218
	s_waitcnt lgkmcnt(1)
	v_max_f32_e32 v10, v10, v10
	v_max_f32_e32 v9, v9, v10
	ds_bpermute_b32 v10, v4, v9
	s_waitcnt lgkmcnt(0)
	v_max_f32_e32 v10, v10, v10
	v_max_f32_e32 v9, v9, v10
	ds_bpermute_b32 v10, v5, v9
	;; [unrolled: 4-line block ×4, first 2 shown]
	s_waitcnt lgkmcnt(0)
	v_max_f32_e32 v10, v10, v10
	v_max_f32_e32 v9, v9, v10
	v_sub_f32_e32 v10, v11, v9
	v_mul_f32_e32 v11, 0x3fb8aa3b, v10
	v_fma_f32 v12, v10, s2, -v11
	v_rndne_f32_e32 v13, v11
	v_fmac_f32_e32 v12, 0x32a5705f, v10
	v_sub_f32_e32 v11, v11, v13
	v_add_f32_e32 v11, v11, v12
	v_cvt_i32_f32_e32 v13, v13
	v_exp_f32_e32 v11, v11
	s_mov_b32 s2, 0xc2ce8ed0
	v_cmp_ngt_f32_e64 s[2:3], s2, v10
	v_mov_b32_e32 v12, 0x7f800000
	v_ldexp_f32 v11, v11, v13
	v_cndmask_b32_e64 v11, 0, v11, s[2:3]
	v_cmp_nlt_f32_e64 s[2:3], s6, v10
	v_cndmask_b32_e64 v12, v12, v11, s[2:3]
	ds_bpermute_b32 v10, v3, v12
	ds_write_b32 v2, v12 offset:128
	s_waitcnt lgkmcnt(1)
	v_add_f32_e32 v10, v12, v10
	ds_bpermute_b32 v11, v4, v10
	s_waitcnt lgkmcnt(0)
	v_add_f32_e32 v10, v10, v11
	ds_bpermute_b32 v11, v5, v10
	;; [unrolled: 3-line block ×4, first 2 shown]
	s_and_saveexec_b64 s[2:3], vcc
	s_cbranch_execz .LBB8_21
; %bb.20:
	s_waitcnt lgkmcnt(0)
	v_add_f32_e32 v10, v10, v11
	v_add_u32_e32 v0, 0, v0
	ds_write_b32 v0, v10
.LBB8_21:
	s_or_b64 exec, exec, s[2:3]
	v_mov_b32_e32 v0, 0
	s_waitcnt lgkmcnt(0)
	s_barrier
	s_and_saveexec_b64 s[2:3], s[0:1]
; %bb.22:
	ds_read_b32 v0, v8
; %bb.23:
	s_or_b64 exec, exec, s[2:3]
	s_waitcnt lgkmcnt(0)
	ds_bpermute_b32 v3, v3, v0
	s_lshl_b64 s[0:1], s[8:9], 8
	s_andn2_b64 vcc, exec, s[4:5]
	s_waitcnt lgkmcnt(0)
	v_add_f32_e32 v0, v0, v3
	ds_bpermute_b32 v3, v4, v0
	s_waitcnt lgkmcnt(0)
	v_add_f32_e32 v0, v0, v3
	ds_bpermute_b32 v3, v5, v0
	;; [unrolled: 3-line block ×4, first 2 shown]
	s_waitcnt lgkmcnt(0)
	v_add_f32_e32 v0, v0, v3
	s_cbranch_vccnz .LBB8_25
; %bb.24:
	s_lshl_b64 s[2:3], s[10:11], 2
	s_add_u32 s2, s24, s2
	s_addc_u32 s3, s25, s3
	s_load_dword s2, s[2:3], 0x0
	s_mov_b32 s3, 0x3fb8aa3b
	s_waitcnt lgkmcnt(0)
	v_sub_f32_e32 v3, s2, v9
	v_mul_f32_e32 v4, 0x3fb8aa3b, v3
	v_fma_f32 v5, v3, s3, -v4
	v_rndne_f32_e32 v6, v4
	v_fmac_f32_e32 v5, 0x32a5705f, v3
	v_sub_f32_e32 v4, v4, v6
	v_add_f32_e32 v4, v4, v5
	v_cvt_i32_f32_e32 v6, v6
	v_exp_f32_e32 v4, v4
	s_mov_b32 s2, 0xc2ce8ed0
	s_mov_b32 s3, 0x42b17218
	v_cmp_ngt_f32_e32 vcc, s2, v3
	v_ldexp_f32 v4, v4, v6
	v_cndmask_b32_e32 v4, 0, v4, vcc
	v_mov_b32_e32 v5, 0x7f800000
	v_cmp_nlt_f32_e32 vcc, s3, v3
	v_cndmask_b32_e32 v3, v5, v4, vcc
	v_add_f32_e32 v0, v0, v3
.LBB8_25:
	v_div_scale_f32 v3, s[2:3], v0, v0, 1.0
	v_div_scale_f32 v4, vcc, 1.0, v0, 1.0
	ds_read_b32 v2, v2 offset:128
	s_lshl_b64 s[0:1], s[0:1], 2
	s_add_u32 s0, s26, s0
	s_addc_u32 s1, s27, s1
	v_rcp_f32_e32 v5, v3
	v_fma_f32 v6, -v3, v5, 1.0
	v_fmac_f32_e32 v5, v6, v5
	v_mul_f32_e32 v6, v4, v5
	v_fma_f32 v7, -v3, v6, v4
	v_fmac_f32_e32 v6, v7, v5
	v_fma_f32 v3, -v3, v6, v4
	v_div_fmas_f32 v3, v3, v5, v6
	v_div_fixup_f32 v0, v3, v0, 1.0
	s_waitcnt lgkmcnt(0)
	v_mul_f32_e32 v0, v0, v2
	global_store_dword v1, v0, s[0:1]
	s_endpgm
	.section	.rodata,"a",@progbits
	.p2align	6, 0x0
	.amdhsa_kernel _ZL12soft_max_f32ILb1ELi256ELi256E6__halfEvPKfPKT2_S2_Pf15soft_max_params
		.amdhsa_group_segment_fixed_size 0
		.amdhsa_private_segment_fixed_size 0
		.amdhsa_kernarg_size 416
		.amdhsa_user_sgpr_count 6
		.amdhsa_user_sgpr_private_segment_buffer 1
		.amdhsa_user_sgpr_dispatch_ptr 0
		.amdhsa_user_sgpr_queue_ptr 0
		.amdhsa_user_sgpr_kernarg_segment_ptr 1
		.amdhsa_user_sgpr_dispatch_id 0
		.amdhsa_user_sgpr_flat_scratch_init 0
		.amdhsa_user_sgpr_private_segment_size 0
		.amdhsa_uses_dynamic_stack 0
		.amdhsa_system_sgpr_private_segment_wavefront_offset 0
		.amdhsa_system_sgpr_workgroup_id_x 1
		.amdhsa_system_sgpr_workgroup_id_y 1
		.amdhsa_system_sgpr_workgroup_id_z 1
		.amdhsa_system_sgpr_workgroup_info 0
		.amdhsa_system_vgpr_workitem_id 0
		.amdhsa_next_free_vgpr 14
		.amdhsa_next_free_sgpr 36
		.amdhsa_reserve_vcc 1
		.amdhsa_reserve_flat_scratch 0
		.amdhsa_float_round_mode_32 0
		.amdhsa_float_round_mode_16_64 0
		.amdhsa_float_denorm_mode_32 3
		.amdhsa_float_denorm_mode_16_64 3
		.amdhsa_dx10_clamp 1
		.amdhsa_ieee_mode 1
		.amdhsa_fp16_overflow 0
		.amdhsa_exception_fp_ieee_invalid_op 0
		.amdhsa_exception_fp_denorm_src 0
		.amdhsa_exception_fp_ieee_div_zero 0
		.amdhsa_exception_fp_ieee_overflow 0
		.amdhsa_exception_fp_ieee_underflow 0
		.amdhsa_exception_fp_ieee_inexact 0
		.amdhsa_exception_int_div_zero 0
	.end_amdhsa_kernel
	.section	.text._ZL12soft_max_f32ILb1ELi256ELi256E6__halfEvPKfPKT2_S2_Pf15soft_max_params,"axG",@progbits,_ZL12soft_max_f32ILb1ELi256ELi256E6__halfEvPKfPKT2_S2_Pf15soft_max_params,comdat
.Lfunc_end8:
	.size	_ZL12soft_max_f32ILb1ELi256ELi256E6__halfEvPKfPKT2_S2_Pf15soft_max_params, .Lfunc_end8-_ZL12soft_max_f32ILb1ELi256ELi256E6__halfEvPKfPKT2_S2_Pf15soft_max_params
                                        ; -- End function
	.set _ZL12soft_max_f32ILb1ELi256ELi256E6__halfEvPKfPKT2_S2_Pf15soft_max_params.num_vgpr, 14
	.set _ZL12soft_max_f32ILb1ELi256ELi256E6__halfEvPKfPKT2_S2_Pf15soft_max_params.num_agpr, 0
	.set _ZL12soft_max_f32ILb1ELi256ELi256E6__halfEvPKfPKT2_S2_Pf15soft_max_params.numbered_sgpr, 36
	.set _ZL12soft_max_f32ILb1ELi256ELi256E6__halfEvPKfPKT2_S2_Pf15soft_max_params.num_named_barrier, 0
	.set _ZL12soft_max_f32ILb1ELi256ELi256E6__halfEvPKfPKT2_S2_Pf15soft_max_params.private_seg_size, 0
	.set _ZL12soft_max_f32ILb1ELi256ELi256E6__halfEvPKfPKT2_S2_Pf15soft_max_params.uses_vcc, 1
	.set _ZL12soft_max_f32ILb1ELi256ELi256E6__halfEvPKfPKT2_S2_Pf15soft_max_params.uses_flat_scratch, 0
	.set _ZL12soft_max_f32ILb1ELi256ELi256E6__halfEvPKfPKT2_S2_Pf15soft_max_params.has_dyn_sized_stack, 0
	.set _ZL12soft_max_f32ILb1ELi256ELi256E6__halfEvPKfPKT2_S2_Pf15soft_max_params.has_recursion, 0
	.set _ZL12soft_max_f32ILb1ELi256ELi256E6__halfEvPKfPKT2_S2_Pf15soft_max_params.has_indirect_call, 0
	.section	.AMDGPU.csdata,"",@progbits
; Kernel info:
; codeLenInByte = 3592
; TotalNumSgprs: 40
; NumVgprs: 14
; ScratchSize: 0
; MemoryBound: 0
; FloatMode: 240
; IeeeMode: 1
; LDSByteSize: 0 bytes/workgroup (compile time only)
; SGPRBlocks: 4
; VGPRBlocks: 3
; NumSGPRsForWavesPerEU: 40
; NumVGPRsForWavesPerEU: 14
; Occupancy: 10
; WaveLimiterHint : 1
; COMPUTE_PGM_RSRC2:SCRATCH_EN: 0
; COMPUTE_PGM_RSRC2:USER_SGPR: 6
; COMPUTE_PGM_RSRC2:TRAP_HANDLER: 0
; COMPUTE_PGM_RSRC2:TGID_X_EN: 1
; COMPUTE_PGM_RSRC2:TGID_Y_EN: 1
; COMPUTE_PGM_RSRC2:TGID_Z_EN: 1
; COMPUTE_PGM_RSRC2:TIDIG_COMP_CNT: 0
	.section	.text._ZL12soft_max_f32ILb1ELi128ELi128E6__halfEvPKfPKT2_S2_Pf15soft_max_params,"axG",@progbits,_ZL12soft_max_f32ILb1ELi128ELi128E6__halfEvPKfPKT2_S2_Pf15soft_max_params,comdat
	.globl	_ZL12soft_max_f32ILb1ELi128ELi128E6__halfEvPKfPKT2_S2_Pf15soft_max_params ; -- Begin function _ZL12soft_max_f32ILb1ELi128ELi128E6__halfEvPKfPKT2_S2_Pf15soft_max_params
	.p2align	8
	.type	_ZL12soft_max_f32ILb1ELi128ELi128E6__halfEvPKfPKT2_S2_Pf15soft_max_params,@function
_ZL12soft_max_f32ILb1ELi128ELi128E6__halfEvPKfPKT2_S2_Pf15soft_max_params: ; @_ZL12soft_max_f32ILb1ELi128ELi128E6__halfEvPKfPKT2_S2_Pf15soft_max_params
; %bb.0:
	s_load_dwordx8 s[12:19], s[4:5], 0x68
	s_load_dwordx2 s[0:1], s[4:5], 0x88
	s_mov_b32 s11, 0
	s_mov_b32 s2, s11
	s_mov_b32 s10, s7
	s_waitcnt lgkmcnt(0)
	s_mov_b32 s3, s19
	s_cmp_lg_u64 s[2:3], 0
	s_cbranch_scc0 .LBB9_10
; %bb.1:
	s_ashr_i32 s2, s19, 31
	s_add_u32 s20, s18, s2
	s_mov_b32 s3, s2
	s_addc_u32 s21, s19, s2
	s_xor_b64 s[20:21], s[20:21], s[2:3]
	v_cvt_f32_u32_e32 v1, s20
	v_cvt_f32_u32_e32 v2, s21
	s_sub_u32 s7, 0, s20
	s_subb_u32 s9, 0, s21
	v_madmk_f32 v1, v2, 0x4f800000, v1
	v_rcp_f32_e32 v1, v1
	v_mul_f32_e32 v1, 0x5f7ffffc, v1
	v_mul_f32_e32 v2, 0x2f800000, v1
	v_trunc_f32_e32 v2, v2
	v_madmk_f32 v1, v2, 0xcf800000, v1
	v_cvt_u32_f32_e32 v2, v2
	v_cvt_u32_f32_e32 v1, v1
	v_readfirstlane_b32 s19, v2
	v_readfirstlane_b32 s22, v1
	s_mul_i32 s23, s7, s19
	s_mul_hi_u32 s25, s7, s22
	s_mul_i32 s24, s9, s22
	s_add_i32 s23, s25, s23
	s_add_i32 s23, s23, s24
	s_mul_i32 s26, s7, s22
	s_mul_i32 s25, s22, s23
	s_mul_hi_u32 s27, s22, s26
	s_mul_hi_u32 s24, s22, s23
	s_add_u32 s25, s27, s25
	s_addc_u32 s24, 0, s24
	s_mul_hi_u32 s28, s19, s26
	s_mul_i32 s26, s19, s26
	s_add_u32 s25, s25, s26
	s_mul_hi_u32 s27, s19, s23
	s_addc_u32 s24, s24, s28
	s_addc_u32 s25, s27, 0
	s_mul_i32 s23, s19, s23
	s_add_u32 s23, s24, s23
	s_addc_u32 s24, 0, s25
	s_add_u32 s25, s22, s23
	s_cselect_b64 s[22:23], -1, 0
	s_cmp_lg_u64 s[22:23], 0
	s_addc_u32 s19, s19, s24
	s_mul_i32 s22, s7, s19
	s_mul_hi_u32 s23, s7, s25
	s_add_i32 s22, s23, s22
	s_mul_i32 s9, s9, s25
	s_add_i32 s22, s22, s9
	s_mul_i32 s7, s7, s25
	s_mul_hi_u32 s23, s19, s7
	s_mul_i32 s24, s19, s7
	s_mul_i32 s27, s25, s22
	s_mul_hi_u32 s7, s25, s7
	s_mul_hi_u32 s26, s25, s22
	s_add_u32 s7, s7, s27
	s_addc_u32 s26, 0, s26
	s_add_u32 s7, s7, s24
	s_mul_hi_u32 s9, s19, s22
	s_addc_u32 s7, s26, s23
	s_addc_u32 s9, s9, 0
	s_mul_i32 s22, s19, s22
	s_add_u32 s7, s7, s22
	s_addc_u32 s9, 0, s9
	s_add_u32 s7, s25, s7
	s_cselect_b64 s[22:23], -1, 0
	s_cmp_lg_u64 s[22:23], 0
	s_addc_u32 s9, s19, s9
	s_add_u32 s22, s10, 0
	s_addc_u32 s23, 0, 0
	s_xor_b64 s[22:23], s[22:23], 0
	s_mul_i32 s24, s22, s9
	s_mul_hi_u32 s25, s22, s7
	s_mul_hi_u32 s19, s22, s9
	s_add_u32 s24, s25, s24
	s_addc_u32 s19, 0, s19
	s_mul_hi_u32 s26, s23, s7
	s_mul_i32 s7, s23, s7
	s_add_u32 s7, s24, s7
	s_mul_hi_u32 s25, s23, s9
	s_addc_u32 s7, s19, s26
	s_addc_u32 s19, s25, 0
	s_mul_i32 s9, s23, s9
	s_add_u32 s7, s7, s9
	s_addc_u32 s9, 0, s19
	s_mul_i32 s9, s20, s9
	s_mul_hi_u32 s19, s20, s7
	s_add_i32 s9, s19, s9
	s_mul_i32 s19, s21, s7
	s_add_i32 s9, s9, s19
	s_sub_i32 s19, s23, s9
	s_mul_i32 s7, s20, s7
	s_sub_u32 s7, s22, s7
	s_cselect_b64 s[24:25], -1, 0
	s_cmp_lg_u64 s[24:25], 0
	s_subb_u32 s19, s19, s21
	s_sub_u32 s22, s7, s20
	s_cselect_b64 s[26:27], -1, 0
	s_cmp_lg_u64 s[26:27], 0
	s_subb_u32 s28, s19, 0
	s_cmp_ge_u32 s28, s21
	s_cselect_b32 s29, -1, 0
	s_cmp_ge_u32 s22, s20
	s_cselect_b32 s30, -1, 0
	s_cmp_eq_u32 s28, s21
	s_cselect_b32 s29, s30, s29
	s_cmp_lg_u64 s[26:27], 0
	s_subb_u32 s19, s19, s21
	s_sub_u32 s30, s22, s20
	s_cselect_b64 s[26:27], -1, 0
	s_cmp_lg_u64 s[26:27], 0
	s_subb_u32 s19, s19, 0
	s_cmp_lg_u32 s29, 0
	s_cselect_b32 s22, s30, s22
	s_cselect_b32 s19, s19, s28
	s_cmp_lg_u64 s[24:25], 0
	s_subb_u32 s9, s23, s9
	s_cmp_ge_u32 s9, s21
	s_cselect_b32 s23, -1, 0
	s_cmp_ge_u32 s7, s20
	s_cselect_b32 s20, -1, 0
	s_cmp_eq_u32 s9, s21
	s_cselect_b32 s20, s20, s23
	s_cmp_lg_u32 s20, 0
	s_cselect_b32 s21, s19, s9
	s_cselect_b32 s20, s22, s7
	s_xor_b64 s[20:21], s[20:21], 0
	s_sub_u32 s28, s20, 0
	s_subb_u32 s29, s21, 0
	s_cbranch_execnz .LBB9_3
.LBB9_2:
	v_cvt_f32_u32_e32 v1, s18
	s_sub_i32 s2, 0, s18
	s_mov_b32 s29, 0
	v_rcp_iflag_f32_e32 v1, v1
	v_mul_f32_e32 v1, 0x4f7ffffe, v1
	v_cvt_u32_f32_e32 v1, v1
	v_readfirstlane_b32 s3, v1
	s_mul_i32 s2, s2, s3
	s_mul_hi_u32 s2, s3, s2
	s_add_i32 s3, s3, s2
	s_mul_hi_u32 s2, s10, s3
	s_mul_i32 s2, s2, s18
	s_sub_i32 s2, s10, s2
	s_sub_i32 s3, s2, s18
	s_cmp_ge_u32 s2, s18
	s_cselect_b32 s2, s3, s2
	s_sub_i32 s3, s2, s18
	s_cmp_ge_u32 s2, s18
	s_cselect_b32 s28, s3, s2
.LBB9_3:
	s_load_dwordx2 s[18:19], s[4:5], 0x90
	s_mov_b32 s2, 0
	s_mov_b32 s3, s1
	s_cmp_lg_u64 s[2:3], 0
	s_cbranch_scc0 .LBB9_11
; %bb.4:
	s_ashr_i32 s2, s1, 31
	s_add_u32 s20, s0, s2
	s_mov_b32 s3, s2
	s_addc_u32 s21, s1, s2
	s_xor_b64 s[20:21], s[20:21], s[2:3]
	v_cvt_f32_u32_e32 v1, s20
	v_cvt_f32_u32_e32 v2, s21
	s_sub_u32 s1, 0, s20
	s_subb_u32 s7, 0, s21
	v_madmk_f32 v1, v2, 0x4f800000, v1
	v_rcp_f32_e32 v1, v1
	v_mul_f32_e32 v1, 0x5f7ffffc, v1
	v_mul_f32_e32 v2, 0x2f800000, v1
	v_trunc_f32_e32 v2, v2
	v_madmk_f32 v1, v2, 0xcf800000, v1
	v_cvt_u32_f32_e32 v2, v2
	v_cvt_u32_f32_e32 v1, v1
	v_readfirstlane_b32 s9, v2
	v_readfirstlane_b32 s22, v1
	s_mul_i32 s23, s1, s9
	s_mul_hi_u32 s25, s1, s22
	s_mul_i32 s24, s7, s22
	s_add_i32 s23, s25, s23
	s_add_i32 s23, s23, s24
	s_mul_i32 s26, s1, s22
	s_mul_i32 s25, s22, s23
	s_mul_hi_u32 s27, s22, s26
	s_mul_hi_u32 s24, s22, s23
	s_add_u32 s25, s27, s25
	s_addc_u32 s24, 0, s24
	s_mul_hi_u32 s30, s9, s26
	s_mul_i32 s26, s9, s26
	s_add_u32 s25, s25, s26
	s_mul_hi_u32 s27, s9, s23
	s_addc_u32 s24, s24, s30
	s_addc_u32 s25, s27, 0
	s_mul_i32 s23, s9, s23
	s_add_u32 s23, s24, s23
	s_addc_u32 s24, 0, s25
	s_add_u32 s25, s22, s23
	s_cselect_b64 s[22:23], -1, 0
	s_cmp_lg_u64 s[22:23], 0
	s_addc_u32 s9, s9, s24
	s_mul_i32 s22, s1, s9
	s_mul_hi_u32 s23, s1, s25
	s_add_i32 s22, s23, s22
	s_mul_i32 s7, s7, s25
	s_add_i32 s22, s22, s7
	s_mul_i32 s1, s1, s25
	s_mul_hi_u32 s23, s9, s1
	s_mul_i32 s24, s9, s1
	s_mul_i32 s27, s25, s22
	s_mul_hi_u32 s1, s25, s1
	s_mul_hi_u32 s26, s25, s22
	s_add_u32 s1, s1, s27
	s_addc_u32 s26, 0, s26
	s_add_u32 s1, s1, s24
	s_mul_hi_u32 s7, s9, s22
	s_addc_u32 s1, s26, s23
	s_addc_u32 s7, s7, 0
	s_mul_i32 s22, s9, s22
	s_add_u32 s1, s1, s22
	s_addc_u32 s7, 0, s7
	s_add_u32 s1, s25, s1
	s_cselect_b64 s[22:23], -1, 0
	s_cmp_lg_u64 s[22:23], 0
	s_addc_u32 s7, s9, s7
	s_add_u32 s22, s8, 0
	s_addc_u32 s23, 0, 0
	s_xor_b64 s[22:23], s[22:23], 0
	s_mul_i32 s24, s22, s7
	s_mul_hi_u32 s25, s22, s1
	s_mul_hi_u32 s9, s22, s7
	s_add_u32 s24, s25, s24
	s_addc_u32 s9, 0, s9
	s_mul_hi_u32 s26, s23, s1
	s_mul_i32 s1, s23, s1
	s_add_u32 s1, s24, s1
	s_mul_hi_u32 s25, s23, s7
	s_addc_u32 s1, s9, s26
	s_addc_u32 s9, s25, 0
	s_mul_i32 s7, s23, s7
	s_add_u32 s1, s1, s7
	s_addc_u32 s7, 0, s9
	s_mul_i32 s7, s20, s7
	s_mul_hi_u32 s9, s20, s1
	s_add_i32 s7, s9, s7
	s_mul_i32 s9, s21, s1
	s_add_i32 s7, s7, s9
	s_sub_i32 s9, s23, s7
	s_mul_i32 s1, s20, s1
	s_sub_u32 s1, s22, s1
	s_cselect_b64 s[24:25], -1, 0
	s_cmp_lg_u64 s[24:25], 0
	s_subb_u32 s9, s9, s21
	s_sub_u32 s22, s1, s20
	s_cselect_b64 s[26:27], -1, 0
	s_cmp_lg_u64 s[26:27], 0
	s_subb_u32 s30, s9, 0
	s_cmp_ge_u32 s30, s21
	s_cselect_b32 s31, -1, 0
	s_cmp_ge_u32 s22, s20
	s_cselect_b32 s33, -1, 0
	s_cmp_eq_u32 s30, s21
	s_cselect_b32 s31, s33, s31
	s_cmp_lg_u64 s[26:27], 0
	s_subb_u32 s9, s9, s21
	s_sub_u32 s33, s22, s20
	s_cselect_b64 s[26:27], -1, 0
	s_cmp_lg_u64 s[26:27], 0
	s_subb_u32 s9, s9, 0
	s_cmp_lg_u32 s31, 0
	s_cselect_b32 s22, s33, s22
	s_cselect_b32 s9, s9, s30
	s_cmp_lg_u64 s[24:25], 0
	s_subb_u32 s7, s23, s7
	s_cmp_ge_u32 s7, s21
	s_cselect_b32 s23, -1, 0
	s_cmp_ge_u32 s1, s20
	s_cselect_b32 s20, -1, 0
	s_cmp_eq_u32 s7, s21
	s_cselect_b32 s20, s20, s23
	s_cmp_lg_u32 s20, 0
	s_cselect_b32 s21, s9, s7
	s_cselect_b32 s20, s22, s1
	s_xor_b64 s[20:21], s[20:21], 0
	s_sub_u32 s30, s20, 0
	s_subb_u32 s31, s21, 0
	s_cbranch_execnz .LBB9_6
.LBB9_5:
	v_cvt_f32_u32_e32 v1, s0
	s_sub_i32 s1, 0, s0
	s_mov_b32 s31, 0
	v_rcp_iflag_f32_e32 v1, v1
	v_mul_f32_e32 v1, 0x4f7ffffe, v1
	v_cvt_u32_f32_e32 v1, v1
	v_readfirstlane_b32 s2, v1
	s_mul_i32 s1, s1, s2
	s_mul_hi_u32 s1, s2, s1
	s_add_i32 s2, s2, s1
	s_mul_hi_u32 s1, s8, s2
	s_mul_i32 s1, s1, s0
	s_sub_i32 s1, s8, s1
	s_sub_i32 s2, s1, s0
	s_cmp_ge_u32 s1, s0
	s_cselect_b32 s1, s2, s1
	s_sub_i32 s2, s1, s0
	s_cmp_ge_u32 s1, s0
	s_cselect_b32 s30, s2, s1
.LBB9_6:
	s_load_dwordx2 s[34:35], s[4:5], 0xa0
	s_waitcnt lgkmcnt(0)
	v_cmp_le_f32_e64 s[0:1], s19, 0
	s_and_b64 vcc, exec, s[0:1]
	v_mov_b32_e32 v2, 1.0
	s_cbranch_vccnz .LBB9_8
; %bb.7:
	s_load_dword s2, s[4:5], 0x28
	s_load_dwordx2 s[0:1], s[4:5], 0x98
	s_add_i32 s3, s10, 1
	s_waitcnt lgkmcnt(0)
	s_sub_i32 s7, s10, s2
	v_mov_b32_e32 v2, s0
	s_lshl_b32 s0, s7, 1
	s_or_b32 s7, s0, 1
	s_cmp_lt_u32 s10, s2
	s_cselect_b64 vcc, -1, 0
	v_mov_b32_e32 v1, s1
	s_and_b64 s[0:1], vcc, exec
	s_cselect_b32 s0, s3, s7
	v_cndmask_b32_e32 v1, v1, v2, vcc
	v_cvt_f32_i32_e32 v2, s0
	v_cmp_neq_f32_e32 vcc, 1.0, v1
	s_mov_b32 s0, 0x3f2aaaab
	s_movk_i32 s2, 0x204
	v_cndmask_b32_e32 v2, 1.0, v2, vcc
	v_cmp_neq_f32_e32 vcc, 0, v2
	v_cndmask_b32_e32 v1, 1.0, v1, vcc
	v_frexp_mant_f32_e64 v3, |v1|
	v_cmp_gt_f32_e32 vcc, s0, v3
	v_cndmask_b32_e64 v4, 1.0, 2.0, vcc
	v_mul_f32_e32 v3, v3, v4
	v_add_f32_e32 v4, 1.0, v3
	v_rcp_f32_e32 v5, v4
	v_add_f32_e32 v6, -1.0, v3
	v_add_f32_e32 v7, -1.0, v4
	v_sub_f32_e32 v3, v3, v7
	v_mul_f32_e32 v7, v6, v5
	v_mul_f32_e32 v8, v4, v7
	v_fma_f32 v4, v7, v4, -v8
	v_fmac_f32_e32 v4, v7, v3
	v_add_f32_e32 v3, v8, v4
	v_sub_f32_e32 v9, v6, v3
	v_sub_f32_e32 v8, v3, v8
	;; [unrolled: 1-line block ×5, first 2 shown]
	v_add_f32_e32 v3, v4, v3
	v_add_f32_e32 v3, v9, v3
	v_mul_f32_e32 v3, v5, v3
	v_add_f32_e32 v5, v7, v3
	v_sub_f32_e32 v4, v5, v7
	v_sub_f32_e32 v6, v3, v4
	v_mul_f32_e32 v3, v5, v5
	v_fma_f32 v4, v5, v5, -v3
	v_add_f32_e32 v7, v6, v6
	v_fmac_f32_e32 v4, v5, v7
	v_add_f32_e32 v7, v3, v4
	v_mov_b32_e32 v8, 0x3e91f4c4
	v_sub_f32_e32 v3, v7, v3
	v_fmac_f32_e32 v8, 0x3e76c4e1, v7
	v_mov_b32_e32 v9, 0x3ecccdef
	v_sub_f32_e32 v3, v4, v3
	v_mul_f32_e32 v4, v5, v7
	v_fmac_f32_e32 v9, v7, v8
	v_fma_f32 v8, v7, v5, -v4
	v_fmac_f32_e32 v8, v7, v6
	v_fmac_f32_e32 v8, v3, v5
	v_add_f32_e32 v10, v4, v8
	v_sub_f32_e32 v4, v10, v4
	v_sub_f32_e32 v8, v8, v4
	v_mul_f32_e32 v4, v7, v9
	v_fma_f32 v7, v7, v9, -v4
	v_fmac_f32_e32 v7, v3, v9
	v_add_f32_e32 v9, v4, v7
	v_sub_f32_e32 v3, v9, v4
	v_sub_f32_e32 v7, v7, v3
	v_cvt_f64_f32_e64 v[3:4], |v1|
	v_add_f32_e32 v11, 0x3f2aaaaa, v9
	v_add_f32_e32 v12, 0xbf2aaaaa, v11
	;; [unrolled: 1-line block ×3, first 2 shown]
	v_frexp_exp_i32_f64_e32 v3, v[3:4]
	v_sub_f32_e32 v9, v9, v12
	v_add_f32_e32 v4, v7, v9
	v_add_f32_e32 v7, v11, v4
	v_sub_f32_e32 v9, v11, v7
	v_add_f32_e32 v4, v4, v9
	v_mul_f32_e32 v9, v10, v7
	v_fma_f32 v11, v10, v7, -v9
	v_subbrev_co_u32_e32 v3, vcc, 0, v3, vcc
	v_cvt_f32_i32_e32 v3, v3
	v_fmac_f32_e32 v11, v10, v4
	s_mov_b32 s0, 0x3f317218
	v_fmac_f32_e32 v11, v8, v7
	v_mul_f32_e32 v4, 0x3f317218, v3
	v_fma_f32 v7, v3, s0, -v4
	v_fmac_f32_e32 v7, 0xb102e308, v3
	v_ldexp_f32 v3, v6, 1
	v_add_f32_e32 v6, v4, v7
	v_sub_f32_e32 v4, v6, v4
	v_ldexp_f32 v5, v5, 1
	v_sub_f32_e32 v4, v7, v4
	v_add_f32_e32 v7, v9, v11
	v_sub_f32_e32 v8, v7, v9
	v_add_f32_e32 v9, v5, v7
	v_sub_f32_e32 v8, v11, v8
	v_sub_f32_e32 v5, v9, v5
	;; [unrolled: 1-line block ×3, first 2 shown]
	v_add_f32_e32 v3, v3, v8
	v_add_f32_e32 v3, v3, v5
	;; [unrolled: 1-line block ×3, first 2 shown]
	v_sub_f32_e32 v7, v5, v9
	v_sub_f32_e32 v3, v3, v7
	v_add_f32_e32 v7, v6, v5
	v_sub_f32_e32 v8, v7, v6
	v_sub_f32_e32 v9, v7, v8
	;; [unrolled: 1-line block ×4, first 2 shown]
	v_add_f32_e32 v5, v5, v6
	v_add_f32_e32 v6, v4, v3
	v_sub_f32_e32 v8, v6, v4
	v_sub_f32_e32 v9, v6, v8
	;; [unrolled: 1-line block ×4, first 2 shown]
	v_add_f32_e32 v3, v3, v4
	v_add_f32_e32 v4, v6, v5
	;; [unrolled: 1-line block ×3, first 2 shown]
	v_sub_f32_e32 v6, v5, v7
	v_sub_f32_e32 v4, v4, v6
	v_add_f32_e32 v3, v3, v4
	v_add_f32_e32 v4, v5, v3
	v_sub_f32_e32 v5, v4, v5
	v_sub_f32_e32 v3, v3, v5
	v_mul_f32_e32 v5, v2, v4
	v_fma_f32 v4, v2, v4, -v5
	v_fmac_f32_e32 v4, v2, v3
	v_add_f32_e32 v3, v5, v4
	v_cmp_class_f32_e64 vcc, v5, s2
	v_sub_f32_e32 v6, v3, v5
	v_cndmask_b32_e32 v3, v3, v5, vcc
	s_mov_b32 s1, 0x42b17218
	v_mov_b32_e32 v5, 0x37000000
	v_cmp_eq_f32_e32 vcc, s1, v3
	v_cndmask_b32_e32 v5, 0, v5, vcc
	v_sub_f32_e32 v4, v4, v6
	v_sub_f32_e32 v6, v3, v5
	s_mov_b32 s3, 0x3fb8aa3b
	v_mul_f32_e32 v7, 0x3fb8aa3b, v6
	v_fma_f32 v8, v6, s3, -v7
	v_rndne_f32_e32 v9, v7
	v_fmac_f32_e32 v8, 0x32a5705f, v6
	v_sub_f32_e32 v7, v7, v9
	v_add_f32_e32 v7, v7, v8
	v_exp_f32_e32 v7, v7
	v_cvt_i32_f32_e32 v8, v9
	s_mov_b32 s0, 0x7f800000
	v_cmp_neq_f32_e64 vcc, |v3|, s0
	s_mov_b32 s0, 0xc2ce8ed0
	v_cndmask_b32_e32 v3, 0, v4, vcc
	v_ldexp_f32 v4, v7, v8
	v_cmp_ngt_f32_e32 vcc, s0, v6
	v_add_f32_e32 v3, v5, v3
	v_cndmask_b32_e32 v4, 0, v4, vcc
	v_mov_b32_e32 v5, 0x7f800000
	v_cmp_nlt_f32_e32 vcc, s1, v6
	v_cndmask_b32_e32 v4, v5, v4, vcc
	v_fma_f32 v3, v4, v3, v4
	v_cmp_class_f32_e64 vcc, v4, s2
	v_cndmask_b32_e32 v3, v3, v4, vcc
	v_trunc_f32_e32 v4, v2
	v_cmp_eq_f32_e32 vcc, v4, v2
	v_mul_f32_e32 v4, 0.5, v2
	v_trunc_f32_e32 v7, v4
	v_cmp_neq_f32_e64 s[0:1], v7, v4
	s_and_b64 s[0:1], vcc, s[0:1]
	v_cndmask_b32_e64 v4, 1.0, v1, s[0:1]
	s_brev_b32 s7, -2
	v_mov_b32_e32 v6, 0x7fc00000
	v_bfi_b32 v3, s7, v3, v4
	v_cndmask_b32_e32 v4, v6, v3, vcc
	v_cmp_gt_f32_e32 vcc, 0, v1
	v_cndmask_b32_e32 v3, v3, v4, vcc
	v_cmp_class_f32_e64 s[20:21], v1, s2
	v_cmp_eq_f32_e32 vcc, 0, v1
	v_cmp_gt_f32_e64 s[2:3], 0, v2
	s_xor_b64 s[2:3], s[2:3], vcc
	v_cndmask_b32_e64 v2, v5, 0, s[2:3]
	v_cndmask_b32_e64 v4, 0, v1, s[0:1]
	v_bfi_b32 v2, s7, v2, v4
	s_or_b64 vcc, vcc, s[20:21]
	v_cndmask_b32_e32 v2, v3, v2, vcc
	v_cmp_o_f32_e32 vcc, v1, v1
	v_cndmask_b32_e32 v2, v6, v2, vcc
.LBB9_8:
	s_load_dwordx8 s[20:27], s[4:5], 0x0
	s_waitcnt lgkmcnt(0)
	s_cmp_lg_u64 s[24:25], 0
	s_cselect_b64 s[4:5], -1, 0
	s_cmp_eq_u64 s[24:25], 0
	s_cbranch_scc1 .LBB9_12
; %bb.9:
	s_lshl_b64 s[0:1], s[10:11], 2
	s_add_u32 s0, s24, s0
	s_addc_u32 s1, s25, s1
	s_load_dword s2, s[0:1], 0x0
	s_branch .LBB9_13
.LBB9_10:
                                        ; implicit-def: $sgpr28_sgpr29
	s_branch .LBB9_2
.LBB9_11:
                                        ; implicit-def: $sgpr30_sgpr31
	s_branch .LBB9_5
.LBB9_12:
	s_mov_b32 s2, 0xff800000
.LBB9_13:
	s_mul_i32 s0, s35, s8
	s_add_i32 s0, s0, s10
	s_mul_i32 s0, s0, s34
	s_add_i32 s8, s0, s6
	s_ashr_i32 s9, s8, 31
	s_lshl_b64 s[0:1], s[8:9], 9
	s_add_u32 s0, s20, s0
	s_addc_u32 s1, s21, s1
	v_lshlrev_b32_e32 v1, 2, v0
	global_load_dword v3, v1, s[0:1]
	s_cmp_eq_u64 s[22:23], 0
	s_cselect_b64 s[0:1], -1, 0
	s_cmp_lg_u64 s[22:23], 0
	v_mov_b32_e32 v8, 0
	s_cbranch_scc0 .LBB9_15
; %bb.14:
	s_mul_i32 s3, s13, s6
	s_mul_hi_u32 s7, s12, s6
	s_add_i32 s7, s7, s3
	s_mul_i32 s3, s12, s6
	s_mul_i32 s6, s28, s15
	s_mul_hi_u32 s12, s28, s14
	s_add_i32 s6, s12, s6
	s_mul_i32 s12, s29, s14
	s_add_i32 s6, s6, s12
	s_mul_i32 s12, s28, s14
	s_add_u32 s3, s12, s3
	s_addc_u32 s7, s6, s7
	s_mul_i32 s6, s30, s17
	s_mul_hi_u32 s12, s30, s16
	s_add_i32 s6, s12, s6
	s_mul_i32 s12, s31, s16
	s_add_i32 s12, s6, s12
	s_mul_i32 s6, s30, s16
	s_add_u32 s6, s3, s6
	s_addc_u32 s7, s7, s12
	s_lshr_b64 s[6:7], s[6:7], 1
	s_and_b64 s[0:1], s[0:1], exec
	s_cselect_b32 s1, 0, s7
	s_cselect_b32 s0, 0, s6
	s_lshl_b64 s[0:1], s[0:1], 1
	s_add_u32 s0, s22, s0
	s_addc_u32 s1, s23, s1
	v_lshlrev_b32_e32 v4, 1, v0
	global_load_ushort v4, v4, s[0:1]
	s_waitcnt vmcnt(0)
	v_cvt_f32_f16_e32 v4, v4
	v_mul_f32_e32 v8, v2, v4
.LBB9_15:
	s_waitcnt vmcnt(0)
	v_fmac_f32_e32 v8, s18, v3
	v_mbcnt_lo_u32_b32 v3, -1, 0
	v_mbcnt_hi_u32_b32 v7, -1, v3
	v_and_b32_e32 v3, 0x60, v7
	v_add_u32_e32 v10, 32, v3
	v_xor_b32_e32 v3, 16, v7
	v_cmp_lt_i32_e32 vcc, v3, v10
	s_waitcnt lgkmcnt(0)
	v_max_f32_e64 v2, s2, s2
	v_cndmask_b32_e32 v3, v7, v3, vcc
	v_max_f32_e32 v2, v2, v8
	v_lshlrev_b32_e32 v3, 2, v3
	ds_bpermute_b32 v4, v3, v2
	s_waitcnt lgkmcnt(0)
	v_max_f32_e32 v4, v4, v4
	v_max_f32_e32 v2, v2, v4
	v_xor_b32_e32 v4, 8, v7
	v_cmp_lt_i32_e32 vcc, v4, v10
	v_cndmask_b32_e32 v4, v7, v4, vcc
	v_lshlrev_b32_e32 v4, 2, v4
	ds_bpermute_b32 v5, v4, v2
	s_waitcnt lgkmcnt(0)
	v_max_f32_e32 v5, v5, v5
	v_max_f32_e32 v2, v2, v5
	v_xor_b32_e32 v5, 4, v7
	v_cmp_lt_i32_e32 vcc, v5, v10
	v_cndmask_b32_e32 v5, v7, v5, vcc
	;; [unrolled: 8-line block ×3, first 2 shown]
	v_lshlrev_b32_e32 v6, 2, v2
	ds_bpermute_b32 v11, v6, v9
	v_lshl_add_u32 v2, v0, 2, 0
	ds_write_b32 v2, v8 offset:128
	v_and_b32_e32 v8, 31, v0
	v_lshrrev_b32_e32 v0, 3, v0
	s_waitcnt lgkmcnt(1)
	v_max_f32_e32 v11, v11, v11
	v_max_f32_e32 v9, v9, v11
	v_xor_b32_e32 v11, 1, v7
	v_cmp_lt_i32_e32 vcc, v11, v10
	v_cndmask_b32_e32 v7, v7, v11, vcc
	v_lshlrev_b32_e32 v7, 2, v7
	ds_bpermute_b32 v10, v7, v9
	v_cmp_eq_u32_e32 vcc, 0, v8
	s_and_saveexec_b64 s[0:1], vcc
	s_xor_b64 s[0:1], exec, s[0:1]
	s_cbranch_execz .LBB9_17
; %bb.16:
	s_waitcnt lgkmcnt(0)
	v_max_f32_e32 v10, v10, v10
	v_max_f32_e32 v9, v9, v9
	;; [unrolled: 1-line block ×3, first 2 shown]
	v_add_u32_e32 v10, 0, v0
	ds_write_b32 v10, v9
.LBB9_17:
	s_or_b64 exec, exec, s[0:1]
	v_cmp_gt_u32_e64 s[0:1], 4, v8
	v_mov_b32_e32 v9, 0xff800000
	v_lshl_add_u32 v8, v8, 2, 0
	s_waitcnt lgkmcnt(0)
	s_barrier
	s_and_saveexec_b64 s[2:3], s[0:1]
; %bb.18:
	ds_read_b32 v9, v8
; %bb.19:
	s_or_b64 exec, exec, s[2:3]
	s_waitcnt lgkmcnt(0)
	ds_bpermute_b32 v10, v3, v9
	v_max_f32_e32 v9, v9, v9
	ds_read_b32 v11, v2 offset:128
	s_mov_b32 s2, 0x3fb8aa3b
	s_mov_b32 s6, 0x42b17218
	s_waitcnt lgkmcnt(1)
	v_max_f32_e32 v10, v10, v10
	v_max_f32_e32 v9, v9, v10
	ds_bpermute_b32 v10, v4, v9
	s_waitcnt lgkmcnt(0)
	v_max_f32_e32 v10, v10, v10
	v_max_f32_e32 v9, v9, v10
	ds_bpermute_b32 v10, v5, v9
	;; [unrolled: 4-line block ×4, first 2 shown]
	s_waitcnt lgkmcnt(0)
	v_max_f32_e32 v10, v10, v10
	v_max_f32_e32 v9, v9, v10
	v_sub_f32_e32 v10, v11, v9
	v_mul_f32_e32 v11, 0x3fb8aa3b, v10
	v_fma_f32 v12, v10, s2, -v11
	v_rndne_f32_e32 v13, v11
	v_fmac_f32_e32 v12, 0x32a5705f, v10
	v_sub_f32_e32 v11, v11, v13
	v_add_f32_e32 v11, v11, v12
	v_cvt_i32_f32_e32 v13, v13
	v_exp_f32_e32 v11, v11
	s_mov_b32 s2, 0xc2ce8ed0
	v_cmp_ngt_f32_e64 s[2:3], s2, v10
	v_mov_b32_e32 v12, 0x7f800000
	v_ldexp_f32 v11, v11, v13
	v_cndmask_b32_e64 v11, 0, v11, s[2:3]
	v_cmp_nlt_f32_e64 s[2:3], s6, v10
	v_cndmask_b32_e64 v12, v12, v11, s[2:3]
	ds_bpermute_b32 v10, v3, v12
	ds_write_b32 v2, v12 offset:128
	s_waitcnt lgkmcnt(1)
	v_add_f32_e32 v10, v12, v10
	ds_bpermute_b32 v11, v4, v10
	s_waitcnt lgkmcnt(0)
	v_add_f32_e32 v10, v10, v11
	ds_bpermute_b32 v11, v5, v10
	;; [unrolled: 3-line block ×4, first 2 shown]
	s_and_saveexec_b64 s[2:3], vcc
	s_cbranch_execz .LBB9_21
; %bb.20:
	s_waitcnt lgkmcnt(0)
	v_add_f32_e32 v10, v10, v11
	v_add_u32_e32 v0, 0, v0
	ds_write_b32 v0, v10
.LBB9_21:
	s_or_b64 exec, exec, s[2:3]
	v_mov_b32_e32 v0, 0
	s_waitcnt lgkmcnt(0)
	s_barrier
	s_and_saveexec_b64 s[2:3], s[0:1]
; %bb.22:
	ds_read_b32 v0, v8
; %bb.23:
	s_or_b64 exec, exec, s[2:3]
	s_waitcnt lgkmcnt(0)
	ds_bpermute_b32 v3, v3, v0
	s_lshl_b64 s[0:1], s[8:9], 7
	s_andn2_b64 vcc, exec, s[4:5]
	s_waitcnt lgkmcnt(0)
	v_add_f32_e32 v0, v0, v3
	ds_bpermute_b32 v3, v4, v0
	s_waitcnt lgkmcnt(0)
	v_add_f32_e32 v0, v0, v3
	ds_bpermute_b32 v3, v5, v0
	;; [unrolled: 3-line block ×4, first 2 shown]
	s_waitcnt lgkmcnt(0)
	v_add_f32_e32 v0, v0, v3
	s_cbranch_vccnz .LBB9_25
; %bb.24:
	s_lshl_b64 s[2:3], s[10:11], 2
	s_add_u32 s2, s24, s2
	s_addc_u32 s3, s25, s3
	s_load_dword s2, s[2:3], 0x0
	s_mov_b32 s3, 0x3fb8aa3b
	s_waitcnt lgkmcnt(0)
	v_sub_f32_e32 v3, s2, v9
	v_mul_f32_e32 v4, 0x3fb8aa3b, v3
	v_fma_f32 v5, v3, s3, -v4
	v_rndne_f32_e32 v6, v4
	v_fmac_f32_e32 v5, 0x32a5705f, v3
	v_sub_f32_e32 v4, v4, v6
	v_add_f32_e32 v4, v4, v5
	v_cvt_i32_f32_e32 v6, v6
	v_exp_f32_e32 v4, v4
	s_mov_b32 s2, 0xc2ce8ed0
	s_mov_b32 s3, 0x42b17218
	v_cmp_ngt_f32_e32 vcc, s2, v3
	v_ldexp_f32 v4, v4, v6
	v_cndmask_b32_e32 v4, 0, v4, vcc
	v_mov_b32_e32 v5, 0x7f800000
	v_cmp_nlt_f32_e32 vcc, s3, v3
	v_cndmask_b32_e32 v3, v5, v4, vcc
	v_add_f32_e32 v0, v0, v3
.LBB9_25:
	v_div_scale_f32 v3, s[2:3], v0, v0, 1.0
	v_div_scale_f32 v4, vcc, 1.0, v0, 1.0
	ds_read_b32 v2, v2 offset:128
	s_lshl_b64 s[0:1], s[0:1], 2
	s_add_u32 s0, s26, s0
	s_addc_u32 s1, s27, s1
	v_rcp_f32_e32 v5, v3
	v_fma_f32 v6, -v3, v5, 1.0
	v_fmac_f32_e32 v5, v6, v5
	v_mul_f32_e32 v6, v4, v5
	v_fma_f32 v7, -v3, v6, v4
	v_fmac_f32_e32 v6, v7, v5
	v_fma_f32 v3, -v3, v6, v4
	v_div_fmas_f32 v3, v3, v5, v6
	v_div_fixup_f32 v0, v3, v0, 1.0
	s_waitcnt lgkmcnt(0)
	v_mul_f32_e32 v0, v0, v2
	global_store_dword v1, v0, s[0:1]
	s_endpgm
	.section	.rodata,"a",@progbits
	.p2align	6, 0x0
	.amdhsa_kernel _ZL12soft_max_f32ILb1ELi128ELi128E6__halfEvPKfPKT2_S2_Pf15soft_max_params
		.amdhsa_group_segment_fixed_size 0
		.amdhsa_private_segment_fixed_size 0
		.amdhsa_kernarg_size 416
		.amdhsa_user_sgpr_count 6
		.amdhsa_user_sgpr_private_segment_buffer 1
		.amdhsa_user_sgpr_dispatch_ptr 0
		.amdhsa_user_sgpr_queue_ptr 0
		.amdhsa_user_sgpr_kernarg_segment_ptr 1
		.amdhsa_user_sgpr_dispatch_id 0
		.amdhsa_user_sgpr_flat_scratch_init 0
		.amdhsa_user_sgpr_private_segment_size 0
		.amdhsa_uses_dynamic_stack 0
		.amdhsa_system_sgpr_private_segment_wavefront_offset 0
		.amdhsa_system_sgpr_workgroup_id_x 1
		.amdhsa_system_sgpr_workgroup_id_y 1
		.amdhsa_system_sgpr_workgroup_id_z 1
		.amdhsa_system_sgpr_workgroup_info 0
		.amdhsa_system_vgpr_workitem_id 0
		.amdhsa_next_free_vgpr 14
		.amdhsa_next_free_sgpr 36
		.amdhsa_reserve_vcc 1
		.amdhsa_reserve_flat_scratch 0
		.amdhsa_float_round_mode_32 0
		.amdhsa_float_round_mode_16_64 0
		.amdhsa_float_denorm_mode_32 3
		.amdhsa_float_denorm_mode_16_64 3
		.amdhsa_dx10_clamp 1
		.amdhsa_ieee_mode 1
		.amdhsa_fp16_overflow 0
		.amdhsa_exception_fp_ieee_invalid_op 0
		.amdhsa_exception_fp_denorm_src 0
		.amdhsa_exception_fp_ieee_div_zero 0
		.amdhsa_exception_fp_ieee_overflow 0
		.amdhsa_exception_fp_ieee_underflow 0
		.amdhsa_exception_fp_ieee_inexact 0
		.amdhsa_exception_int_div_zero 0
	.end_amdhsa_kernel
	.section	.text._ZL12soft_max_f32ILb1ELi128ELi128E6__halfEvPKfPKT2_S2_Pf15soft_max_params,"axG",@progbits,_ZL12soft_max_f32ILb1ELi128ELi128E6__halfEvPKfPKT2_S2_Pf15soft_max_params,comdat
.Lfunc_end9:
	.size	_ZL12soft_max_f32ILb1ELi128ELi128E6__halfEvPKfPKT2_S2_Pf15soft_max_params, .Lfunc_end9-_ZL12soft_max_f32ILb1ELi128ELi128E6__halfEvPKfPKT2_S2_Pf15soft_max_params
                                        ; -- End function
	.set _ZL12soft_max_f32ILb1ELi128ELi128E6__halfEvPKfPKT2_S2_Pf15soft_max_params.num_vgpr, 14
	.set _ZL12soft_max_f32ILb1ELi128ELi128E6__halfEvPKfPKT2_S2_Pf15soft_max_params.num_agpr, 0
	.set _ZL12soft_max_f32ILb1ELi128ELi128E6__halfEvPKfPKT2_S2_Pf15soft_max_params.numbered_sgpr, 36
	.set _ZL12soft_max_f32ILb1ELi128ELi128E6__halfEvPKfPKT2_S2_Pf15soft_max_params.num_named_barrier, 0
	.set _ZL12soft_max_f32ILb1ELi128ELi128E6__halfEvPKfPKT2_S2_Pf15soft_max_params.private_seg_size, 0
	.set _ZL12soft_max_f32ILb1ELi128ELi128E6__halfEvPKfPKT2_S2_Pf15soft_max_params.uses_vcc, 1
	.set _ZL12soft_max_f32ILb1ELi128ELi128E6__halfEvPKfPKT2_S2_Pf15soft_max_params.uses_flat_scratch, 0
	.set _ZL12soft_max_f32ILb1ELi128ELi128E6__halfEvPKfPKT2_S2_Pf15soft_max_params.has_dyn_sized_stack, 0
	.set _ZL12soft_max_f32ILb1ELi128ELi128E6__halfEvPKfPKT2_S2_Pf15soft_max_params.has_recursion, 0
	.set _ZL12soft_max_f32ILb1ELi128ELi128E6__halfEvPKfPKT2_S2_Pf15soft_max_params.has_indirect_call, 0
	.section	.AMDGPU.csdata,"",@progbits
; Kernel info:
; codeLenInByte = 3592
; TotalNumSgprs: 40
; NumVgprs: 14
; ScratchSize: 0
; MemoryBound: 0
; FloatMode: 240
; IeeeMode: 1
; LDSByteSize: 0 bytes/workgroup (compile time only)
; SGPRBlocks: 4
; VGPRBlocks: 3
; NumSGPRsForWavesPerEU: 40
; NumVGPRsForWavesPerEU: 14
; Occupancy: 10
; WaveLimiterHint : 1
; COMPUTE_PGM_RSRC2:SCRATCH_EN: 0
; COMPUTE_PGM_RSRC2:USER_SGPR: 6
; COMPUTE_PGM_RSRC2:TRAP_HANDLER: 0
; COMPUTE_PGM_RSRC2:TGID_X_EN: 1
; COMPUTE_PGM_RSRC2:TGID_Y_EN: 1
; COMPUTE_PGM_RSRC2:TGID_Z_EN: 1
; COMPUTE_PGM_RSRC2:TIDIG_COMP_CNT: 0
	.section	.text._ZL12soft_max_f32ILb1ELi64ELi64E6__halfEvPKfPKT2_S2_Pf15soft_max_params,"axG",@progbits,_ZL12soft_max_f32ILb1ELi64ELi64E6__halfEvPKfPKT2_S2_Pf15soft_max_params,comdat
	.globl	_ZL12soft_max_f32ILb1ELi64ELi64E6__halfEvPKfPKT2_S2_Pf15soft_max_params ; -- Begin function _ZL12soft_max_f32ILb1ELi64ELi64E6__halfEvPKfPKT2_S2_Pf15soft_max_params
	.p2align	8
	.type	_ZL12soft_max_f32ILb1ELi64ELi64E6__halfEvPKfPKT2_S2_Pf15soft_max_params,@function
_ZL12soft_max_f32ILb1ELi64ELi64E6__halfEvPKfPKT2_S2_Pf15soft_max_params: ; @_ZL12soft_max_f32ILb1ELi64ELi64E6__halfEvPKfPKT2_S2_Pf15soft_max_params
; %bb.0:
	s_load_dwordx8 s[12:19], s[4:5], 0x68
	s_load_dwordx2 s[0:1], s[4:5], 0x88
	s_mov_b32 s11, 0
	s_mov_b32 s2, s11
	;; [unrolled: 1-line block ×3, first 2 shown]
	s_waitcnt lgkmcnt(0)
	s_mov_b32 s3, s19
	s_cmp_lg_u64 s[2:3], 0
	s_cbranch_scc0 .LBB10_10
; %bb.1:
	s_ashr_i32 s2, s19, 31
	s_add_u32 s20, s18, s2
	s_mov_b32 s3, s2
	s_addc_u32 s21, s19, s2
	s_xor_b64 s[20:21], s[20:21], s[2:3]
	v_cvt_f32_u32_e32 v1, s20
	v_cvt_f32_u32_e32 v2, s21
	s_sub_u32 s7, 0, s20
	s_subb_u32 s9, 0, s21
	v_madmk_f32 v1, v2, 0x4f800000, v1
	v_rcp_f32_e32 v1, v1
	v_mul_f32_e32 v1, 0x5f7ffffc, v1
	v_mul_f32_e32 v2, 0x2f800000, v1
	v_trunc_f32_e32 v2, v2
	v_madmk_f32 v1, v2, 0xcf800000, v1
	v_cvt_u32_f32_e32 v2, v2
	v_cvt_u32_f32_e32 v1, v1
	v_readfirstlane_b32 s19, v2
	v_readfirstlane_b32 s22, v1
	s_mul_i32 s23, s7, s19
	s_mul_hi_u32 s25, s7, s22
	s_mul_i32 s24, s9, s22
	s_add_i32 s23, s25, s23
	s_add_i32 s23, s23, s24
	s_mul_i32 s26, s7, s22
	s_mul_i32 s25, s22, s23
	s_mul_hi_u32 s27, s22, s26
	s_mul_hi_u32 s24, s22, s23
	s_add_u32 s25, s27, s25
	s_addc_u32 s24, 0, s24
	s_mul_hi_u32 s28, s19, s26
	s_mul_i32 s26, s19, s26
	s_add_u32 s25, s25, s26
	s_mul_hi_u32 s27, s19, s23
	s_addc_u32 s24, s24, s28
	s_addc_u32 s25, s27, 0
	s_mul_i32 s23, s19, s23
	s_add_u32 s23, s24, s23
	s_addc_u32 s24, 0, s25
	s_add_u32 s25, s22, s23
	s_cselect_b64 s[22:23], -1, 0
	s_cmp_lg_u64 s[22:23], 0
	s_addc_u32 s19, s19, s24
	s_mul_i32 s22, s7, s19
	s_mul_hi_u32 s23, s7, s25
	s_add_i32 s22, s23, s22
	s_mul_i32 s9, s9, s25
	s_add_i32 s22, s22, s9
	s_mul_i32 s7, s7, s25
	s_mul_hi_u32 s23, s19, s7
	s_mul_i32 s24, s19, s7
	s_mul_i32 s27, s25, s22
	s_mul_hi_u32 s7, s25, s7
	s_mul_hi_u32 s26, s25, s22
	s_add_u32 s7, s7, s27
	s_addc_u32 s26, 0, s26
	s_add_u32 s7, s7, s24
	s_mul_hi_u32 s9, s19, s22
	s_addc_u32 s7, s26, s23
	s_addc_u32 s9, s9, 0
	s_mul_i32 s22, s19, s22
	s_add_u32 s7, s7, s22
	s_addc_u32 s9, 0, s9
	s_add_u32 s7, s25, s7
	s_cselect_b64 s[22:23], -1, 0
	s_cmp_lg_u64 s[22:23], 0
	s_addc_u32 s9, s19, s9
	s_add_u32 s22, s10, 0
	s_addc_u32 s23, 0, 0
	s_xor_b64 s[22:23], s[22:23], 0
	s_mul_i32 s24, s22, s9
	s_mul_hi_u32 s25, s22, s7
	s_mul_hi_u32 s19, s22, s9
	s_add_u32 s24, s25, s24
	s_addc_u32 s19, 0, s19
	s_mul_hi_u32 s26, s23, s7
	s_mul_i32 s7, s23, s7
	s_add_u32 s7, s24, s7
	s_mul_hi_u32 s25, s23, s9
	s_addc_u32 s7, s19, s26
	s_addc_u32 s19, s25, 0
	s_mul_i32 s9, s23, s9
	s_add_u32 s7, s7, s9
	s_addc_u32 s9, 0, s19
	s_mul_i32 s9, s20, s9
	s_mul_hi_u32 s19, s20, s7
	s_add_i32 s9, s19, s9
	s_mul_i32 s19, s21, s7
	s_add_i32 s9, s9, s19
	s_sub_i32 s19, s23, s9
	s_mul_i32 s7, s20, s7
	s_sub_u32 s7, s22, s7
	s_cselect_b64 s[24:25], -1, 0
	s_cmp_lg_u64 s[24:25], 0
	s_subb_u32 s19, s19, s21
	s_sub_u32 s22, s7, s20
	s_cselect_b64 s[26:27], -1, 0
	s_cmp_lg_u64 s[26:27], 0
	s_subb_u32 s28, s19, 0
	s_cmp_ge_u32 s28, s21
	s_cselect_b32 s29, -1, 0
	s_cmp_ge_u32 s22, s20
	s_cselect_b32 s30, -1, 0
	s_cmp_eq_u32 s28, s21
	s_cselect_b32 s29, s30, s29
	s_cmp_lg_u64 s[26:27], 0
	s_subb_u32 s19, s19, s21
	s_sub_u32 s30, s22, s20
	s_cselect_b64 s[26:27], -1, 0
	s_cmp_lg_u64 s[26:27], 0
	s_subb_u32 s19, s19, 0
	s_cmp_lg_u32 s29, 0
	s_cselect_b32 s22, s30, s22
	s_cselect_b32 s19, s19, s28
	s_cmp_lg_u64 s[24:25], 0
	s_subb_u32 s9, s23, s9
	s_cmp_ge_u32 s9, s21
	s_cselect_b32 s23, -1, 0
	s_cmp_ge_u32 s7, s20
	s_cselect_b32 s20, -1, 0
	s_cmp_eq_u32 s9, s21
	s_cselect_b32 s20, s20, s23
	s_cmp_lg_u32 s20, 0
	s_cselect_b32 s21, s19, s9
	s_cselect_b32 s20, s22, s7
	s_xor_b64 s[20:21], s[20:21], 0
	s_sub_u32 s28, s20, 0
	s_subb_u32 s29, s21, 0
	s_cbranch_execnz .LBB10_3
.LBB10_2:
	v_cvt_f32_u32_e32 v1, s18
	s_sub_i32 s2, 0, s18
	s_mov_b32 s29, 0
	v_rcp_iflag_f32_e32 v1, v1
	v_mul_f32_e32 v1, 0x4f7ffffe, v1
	v_cvt_u32_f32_e32 v1, v1
	v_readfirstlane_b32 s3, v1
	s_mul_i32 s2, s2, s3
	s_mul_hi_u32 s2, s3, s2
	s_add_i32 s3, s3, s2
	s_mul_hi_u32 s2, s10, s3
	s_mul_i32 s2, s2, s18
	s_sub_i32 s2, s10, s2
	s_sub_i32 s3, s2, s18
	s_cmp_ge_u32 s2, s18
	s_cselect_b32 s2, s3, s2
	s_sub_i32 s3, s2, s18
	s_cmp_ge_u32 s2, s18
	s_cselect_b32 s28, s3, s2
.LBB10_3:
	s_load_dwordx2 s[18:19], s[4:5], 0x90
	s_mov_b32 s2, 0
	s_mov_b32 s3, s1
	s_cmp_lg_u64 s[2:3], 0
	s_cbranch_scc0 .LBB10_11
; %bb.4:
	s_ashr_i32 s2, s1, 31
	s_add_u32 s20, s0, s2
	s_mov_b32 s3, s2
	s_addc_u32 s21, s1, s2
	s_xor_b64 s[20:21], s[20:21], s[2:3]
	v_cvt_f32_u32_e32 v1, s20
	v_cvt_f32_u32_e32 v2, s21
	s_sub_u32 s1, 0, s20
	s_subb_u32 s7, 0, s21
	v_madmk_f32 v1, v2, 0x4f800000, v1
	v_rcp_f32_e32 v1, v1
	v_mul_f32_e32 v1, 0x5f7ffffc, v1
	v_mul_f32_e32 v2, 0x2f800000, v1
	v_trunc_f32_e32 v2, v2
	v_madmk_f32 v1, v2, 0xcf800000, v1
	v_cvt_u32_f32_e32 v2, v2
	v_cvt_u32_f32_e32 v1, v1
	v_readfirstlane_b32 s9, v2
	v_readfirstlane_b32 s22, v1
	s_mul_i32 s23, s1, s9
	s_mul_hi_u32 s25, s1, s22
	s_mul_i32 s24, s7, s22
	s_add_i32 s23, s25, s23
	s_add_i32 s23, s23, s24
	s_mul_i32 s26, s1, s22
	s_mul_i32 s25, s22, s23
	s_mul_hi_u32 s27, s22, s26
	s_mul_hi_u32 s24, s22, s23
	s_add_u32 s25, s27, s25
	s_addc_u32 s24, 0, s24
	s_mul_hi_u32 s30, s9, s26
	s_mul_i32 s26, s9, s26
	s_add_u32 s25, s25, s26
	s_mul_hi_u32 s27, s9, s23
	s_addc_u32 s24, s24, s30
	s_addc_u32 s25, s27, 0
	s_mul_i32 s23, s9, s23
	s_add_u32 s23, s24, s23
	s_addc_u32 s24, 0, s25
	s_add_u32 s25, s22, s23
	s_cselect_b64 s[22:23], -1, 0
	s_cmp_lg_u64 s[22:23], 0
	s_addc_u32 s9, s9, s24
	s_mul_i32 s22, s1, s9
	s_mul_hi_u32 s23, s1, s25
	s_add_i32 s22, s23, s22
	s_mul_i32 s7, s7, s25
	s_add_i32 s22, s22, s7
	s_mul_i32 s1, s1, s25
	s_mul_hi_u32 s23, s9, s1
	s_mul_i32 s24, s9, s1
	s_mul_i32 s27, s25, s22
	s_mul_hi_u32 s1, s25, s1
	s_mul_hi_u32 s26, s25, s22
	s_add_u32 s1, s1, s27
	s_addc_u32 s26, 0, s26
	s_add_u32 s1, s1, s24
	s_mul_hi_u32 s7, s9, s22
	s_addc_u32 s1, s26, s23
	s_addc_u32 s7, s7, 0
	s_mul_i32 s22, s9, s22
	s_add_u32 s1, s1, s22
	s_addc_u32 s7, 0, s7
	s_add_u32 s1, s25, s1
	s_cselect_b64 s[22:23], -1, 0
	s_cmp_lg_u64 s[22:23], 0
	s_addc_u32 s7, s9, s7
	s_add_u32 s22, s8, 0
	s_addc_u32 s23, 0, 0
	s_xor_b64 s[22:23], s[22:23], 0
	s_mul_i32 s24, s22, s7
	s_mul_hi_u32 s25, s22, s1
	s_mul_hi_u32 s9, s22, s7
	s_add_u32 s24, s25, s24
	s_addc_u32 s9, 0, s9
	s_mul_hi_u32 s26, s23, s1
	s_mul_i32 s1, s23, s1
	s_add_u32 s1, s24, s1
	s_mul_hi_u32 s25, s23, s7
	s_addc_u32 s1, s9, s26
	s_addc_u32 s9, s25, 0
	s_mul_i32 s7, s23, s7
	s_add_u32 s1, s1, s7
	s_addc_u32 s7, 0, s9
	s_mul_i32 s7, s20, s7
	s_mul_hi_u32 s9, s20, s1
	s_add_i32 s7, s9, s7
	s_mul_i32 s9, s21, s1
	s_add_i32 s7, s7, s9
	s_sub_i32 s9, s23, s7
	s_mul_i32 s1, s20, s1
	s_sub_u32 s1, s22, s1
	s_cselect_b64 s[24:25], -1, 0
	s_cmp_lg_u64 s[24:25], 0
	s_subb_u32 s9, s9, s21
	s_sub_u32 s22, s1, s20
	s_cselect_b64 s[26:27], -1, 0
	s_cmp_lg_u64 s[26:27], 0
	s_subb_u32 s30, s9, 0
	s_cmp_ge_u32 s30, s21
	s_cselect_b32 s31, -1, 0
	s_cmp_ge_u32 s22, s20
	s_cselect_b32 s33, -1, 0
	s_cmp_eq_u32 s30, s21
	s_cselect_b32 s31, s33, s31
	s_cmp_lg_u64 s[26:27], 0
	s_subb_u32 s9, s9, s21
	s_sub_u32 s33, s22, s20
	s_cselect_b64 s[26:27], -1, 0
	s_cmp_lg_u64 s[26:27], 0
	s_subb_u32 s9, s9, 0
	s_cmp_lg_u32 s31, 0
	s_cselect_b32 s22, s33, s22
	s_cselect_b32 s9, s9, s30
	s_cmp_lg_u64 s[24:25], 0
	s_subb_u32 s7, s23, s7
	s_cmp_ge_u32 s7, s21
	s_cselect_b32 s23, -1, 0
	s_cmp_ge_u32 s1, s20
	s_cselect_b32 s20, -1, 0
	s_cmp_eq_u32 s7, s21
	s_cselect_b32 s20, s20, s23
	s_cmp_lg_u32 s20, 0
	s_cselect_b32 s21, s9, s7
	s_cselect_b32 s20, s22, s1
	s_xor_b64 s[20:21], s[20:21], 0
	s_sub_u32 s30, s20, 0
	s_subb_u32 s31, s21, 0
	s_cbranch_execnz .LBB10_6
.LBB10_5:
	v_cvt_f32_u32_e32 v1, s0
	s_sub_i32 s1, 0, s0
	s_mov_b32 s31, 0
	v_rcp_iflag_f32_e32 v1, v1
	v_mul_f32_e32 v1, 0x4f7ffffe, v1
	v_cvt_u32_f32_e32 v1, v1
	v_readfirstlane_b32 s2, v1
	s_mul_i32 s1, s1, s2
	s_mul_hi_u32 s1, s2, s1
	s_add_i32 s2, s2, s1
	s_mul_hi_u32 s1, s8, s2
	s_mul_i32 s1, s1, s0
	s_sub_i32 s1, s8, s1
	s_sub_i32 s2, s1, s0
	s_cmp_ge_u32 s1, s0
	s_cselect_b32 s1, s2, s1
	s_sub_i32 s2, s1, s0
	s_cmp_ge_u32 s1, s0
	s_cselect_b32 s30, s2, s1
.LBB10_6:
	s_load_dwordx2 s[34:35], s[4:5], 0xa0
	s_waitcnt lgkmcnt(0)
	v_cmp_le_f32_e64 s[0:1], s19, 0
	s_and_b64 vcc, exec, s[0:1]
	v_mov_b32_e32 v2, 1.0
	s_cbranch_vccnz .LBB10_8
; %bb.7:
	s_load_dword s2, s[4:5], 0x28
	s_load_dwordx2 s[0:1], s[4:5], 0x98
	s_add_i32 s3, s10, 1
	s_waitcnt lgkmcnt(0)
	s_sub_i32 s7, s10, s2
	v_mov_b32_e32 v2, s0
	s_lshl_b32 s0, s7, 1
	s_or_b32 s7, s0, 1
	s_cmp_lt_u32 s10, s2
	s_cselect_b64 vcc, -1, 0
	v_mov_b32_e32 v1, s1
	s_and_b64 s[0:1], vcc, exec
	s_cselect_b32 s0, s3, s7
	v_cndmask_b32_e32 v1, v1, v2, vcc
	v_cvt_f32_i32_e32 v2, s0
	v_cmp_neq_f32_e32 vcc, 1.0, v1
	s_mov_b32 s0, 0x3f2aaaab
	s_movk_i32 s2, 0x204
	v_cndmask_b32_e32 v2, 1.0, v2, vcc
	v_cmp_neq_f32_e32 vcc, 0, v2
	v_cndmask_b32_e32 v1, 1.0, v1, vcc
	v_frexp_mant_f32_e64 v3, |v1|
	v_cmp_gt_f32_e32 vcc, s0, v3
	v_cndmask_b32_e64 v4, 1.0, 2.0, vcc
	v_mul_f32_e32 v3, v3, v4
	v_add_f32_e32 v4, 1.0, v3
	v_rcp_f32_e32 v5, v4
	v_add_f32_e32 v6, -1.0, v3
	v_add_f32_e32 v7, -1.0, v4
	v_sub_f32_e32 v3, v3, v7
	v_mul_f32_e32 v7, v6, v5
	v_mul_f32_e32 v8, v4, v7
	v_fma_f32 v4, v7, v4, -v8
	v_fmac_f32_e32 v4, v7, v3
	v_add_f32_e32 v3, v8, v4
	v_sub_f32_e32 v9, v6, v3
	v_sub_f32_e32 v8, v3, v8
	;; [unrolled: 1-line block ×5, first 2 shown]
	v_add_f32_e32 v3, v4, v3
	v_add_f32_e32 v3, v9, v3
	v_mul_f32_e32 v3, v5, v3
	v_add_f32_e32 v5, v7, v3
	v_sub_f32_e32 v4, v5, v7
	v_sub_f32_e32 v6, v3, v4
	v_mul_f32_e32 v3, v5, v5
	v_fma_f32 v4, v5, v5, -v3
	v_add_f32_e32 v7, v6, v6
	v_fmac_f32_e32 v4, v5, v7
	v_add_f32_e32 v7, v3, v4
	v_mov_b32_e32 v8, 0x3e91f4c4
	v_sub_f32_e32 v3, v7, v3
	v_fmac_f32_e32 v8, 0x3e76c4e1, v7
	v_mov_b32_e32 v9, 0x3ecccdef
	v_sub_f32_e32 v3, v4, v3
	v_mul_f32_e32 v4, v5, v7
	v_fmac_f32_e32 v9, v7, v8
	v_fma_f32 v8, v7, v5, -v4
	v_fmac_f32_e32 v8, v7, v6
	v_fmac_f32_e32 v8, v3, v5
	v_add_f32_e32 v10, v4, v8
	v_sub_f32_e32 v4, v10, v4
	v_sub_f32_e32 v8, v8, v4
	v_mul_f32_e32 v4, v7, v9
	v_fma_f32 v7, v7, v9, -v4
	v_fmac_f32_e32 v7, v3, v9
	v_add_f32_e32 v9, v4, v7
	v_sub_f32_e32 v3, v9, v4
	v_sub_f32_e32 v7, v7, v3
	v_cvt_f64_f32_e64 v[3:4], |v1|
	v_add_f32_e32 v11, 0x3f2aaaaa, v9
	v_add_f32_e32 v12, 0xbf2aaaaa, v11
	;; [unrolled: 1-line block ×3, first 2 shown]
	v_frexp_exp_i32_f64_e32 v3, v[3:4]
	v_sub_f32_e32 v9, v9, v12
	v_add_f32_e32 v4, v7, v9
	v_add_f32_e32 v7, v11, v4
	v_sub_f32_e32 v9, v11, v7
	v_add_f32_e32 v4, v4, v9
	v_mul_f32_e32 v9, v10, v7
	v_fma_f32 v11, v10, v7, -v9
	v_subbrev_co_u32_e32 v3, vcc, 0, v3, vcc
	v_cvt_f32_i32_e32 v3, v3
	v_fmac_f32_e32 v11, v10, v4
	s_mov_b32 s0, 0x3f317218
	v_fmac_f32_e32 v11, v8, v7
	v_mul_f32_e32 v4, 0x3f317218, v3
	v_fma_f32 v7, v3, s0, -v4
	v_fmac_f32_e32 v7, 0xb102e308, v3
	v_ldexp_f32 v3, v6, 1
	v_add_f32_e32 v6, v4, v7
	v_sub_f32_e32 v4, v6, v4
	v_ldexp_f32 v5, v5, 1
	v_sub_f32_e32 v4, v7, v4
	v_add_f32_e32 v7, v9, v11
	v_sub_f32_e32 v8, v7, v9
	v_add_f32_e32 v9, v5, v7
	v_sub_f32_e32 v8, v11, v8
	v_sub_f32_e32 v5, v9, v5
	;; [unrolled: 1-line block ×3, first 2 shown]
	v_add_f32_e32 v3, v3, v8
	v_add_f32_e32 v3, v3, v5
	;; [unrolled: 1-line block ×3, first 2 shown]
	v_sub_f32_e32 v7, v5, v9
	v_sub_f32_e32 v3, v3, v7
	v_add_f32_e32 v7, v6, v5
	v_sub_f32_e32 v8, v7, v6
	v_sub_f32_e32 v9, v7, v8
	;; [unrolled: 1-line block ×4, first 2 shown]
	v_add_f32_e32 v5, v5, v6
	v_add_f32_e32 v6, v4, v3
	v_sub_f32_e32 v8, v6, v4
	v_sub_f32_e32 v9, v6, v8
	;; [unrolled: 1-line block ×4, first 2 shown]
	v_add_f32_e32 v3, v3, v4
	v_add_f32_e32 v4, v6, v5
	;; [unrolled: 1-line block ×3, first 2 shown]
	v_sub_f32_e32 v6, v5, v7
	v_sub_f32_e32 v4, v4, v6
	v_add_f32_e32 v3, v3, v4
	v_add_f32_e32 v4, v5, v3
	v_sub_f32_e32 v5, v4, v5
	v_sub_f32_e32 v3, v3, v5
	v_mul_f32_e32 v5, v2, v4
	v_fma_f32 v4, v2, v4, -v5
	v_fmac_f32_e32 v4, v2, v3
	v_add_f32_e32 v3, v5, v4
	v_cmp_class_f32_e64 vcc, v5, s2
	v_sub_f32_e32 v6, v3, v5
	v_cndmask_b32_e32 v3, v3, v5, vcc
	s_mov_b32 s1, 0x42b17218
	v_mov_b32_e32 v5, 0x37000000
	v_cmp_eq_f32_e32 vcc, s1, v3
	v_cndmask_b32_e32 v5, 0, v5, vcc
	v_sub_f32_e32 v4, v4, v6
	v_sub_f32_e32 v6, v3, v5
	s_mov_b32 s3, 0x3fb8aa3b
	v_mul_f32_e32 v7, 0x3fb8aa3b, v6
	v_fma_f32 v8, v6, s3, -v7
	v_rndne_f32_e32 v9, v7
	v_fmac_f32_e32 v8, 0x32a5705f, v6
	v_sub_f32_e32 v7, v7, v9
	v_add_f32_e32 v7, v7, v8
	v_exp_f32_e32 v7, v7
	v_cvt_i32_f32_e32 v8, v9
	s_mov_b32 s0, 0x7f800000
	v_cmp_neq_f32_e64 vcc, |v3|, s0
	s_mov_b32 s0, 0xc2ce8ed0
	v_cndmask_b32_e32 v3, 0, v4, vcc
	v_ldexp_f32 v4, v7, v8
	v_cmp_ngt_f32_e32 vcc, s0, v6
	v_add_f32_e32 v3, v5, v3
	v_cndmask_b32_e32 v4, 0, v4, vcc
	v_mov_b32_e32 v5, 0x7f800000
	v_cmp_nlt_f32_e32 vcc, s1, v6
	v_cndmask_b32_e32 v4, v5, v4, vcc
	v_fma_f32 v3, v4, v3, v4
	v_cmp_class_f32_e64 vcc, v4, s2
	v_cndmask_b32_e32 v3, v3, v4, vcc
	v_trunc_f32_e32 v4, v2
	v_cmp_eq_f32_e32 vcc, v4, v2
	v_mul_f32_e32 v4, 0.5, v2
	v_trunc_f32_e32 v7, v4
	v_cmp_neq_f32_e64 s[0:1], v7, v4
	s_and_b64 s[0:1], vcc, s[0:1]
	v_cndmask_b32_e64 v4, 1.0, v1, s[0:1]
	s_brev_b32 s7, -2
	v_mov_b32_e32 v6, 0x7fc00000
	v_bfi_b32 v3, s7, v3, v4
	v_cndmask_b32_e32 v4, v6, v3, vcc
	v_cmp_gt_f32_e32 vcc, 0, v1
	v_cndmask_b32_e32 v3, v3, v4, vcc
	v_cmp_class_f32_e64 s[20:21], v1, s2
	v_cmp_eq_f32_e32 vcc, 0, v1
	v_cmp_gt_f32_e64 s[2:3], 0, v2
	s_xor_b64 s[2:3], s[2:3], vcc
	v_cndmask_b32_e64 v2, v5, 0, s[2:3]
	v_cndmask_b32_e64 v4, 0, v1, s[0:1]
	v_bfi_b32 v2, s7, v2, v4
	s_or_b64 vcc, vcc, s[20:21]
	v_cndmask_b32_e32 v2, v3, v2, vcc
	v_cmp_o_f32_e32 vcc, v1, v1
	v_cndmask_b32_e32 v2, v6, v2, vcc
.LBB10_8:
	s_load_dwordx8 s[20:27], s[4:5], 0x0
	s_waitcnt lgkmcnt(0)
	s_cmp_lg_u64 s[24:25], 0
	s_cselect_b64 s[4:5], -1, 0
	s_cmp_eq_u64 s[24:25], 0
	s_cbranch_scc1 .LBB10_12
; %bb.9:
	s_lshl_b64 s[0:1], s[10:11], 2
	s_add_u32 s0, s24, s0
	s_addc_u32 s1, s25, s1
	s_load_dword s2, s[0:1], 0x0
	s_branch .LBB10_13
.LBB10_10:
                                        ; implicit-def: $sgpr28_sgpr29
	s_branch .LBB10_2
.LBB10_11:
                                        ; implicit-def: $sgpr30_sgpr31
	s_branch .LBB10_5
.LBB10_12:
	s_mov_b32 s2, 0xff800000
.LBB10_13:
	s_mul_i32 s0, s35, s8
	s_add_i32 s0, s0, s10
	s_mul_i32 s0, s0, s34
	s_add_i32 s8, s0, s6
	s_ashr_i32 s9, s8, 31
	s_lshl_b64 s[0:1], s[8:9], 8
	s_add_u32 s0, s20, s0
	s_addc_u32 s1, s21, s1
	v_lshlrev_b32_e32 v1, 2, v0
	global_load_dword v3, v1, s[0:1]
	s_cmp_eq_u64 s[22:23], 0
	s_cselect_b64 s[0:1], -1, 0
	s_cmp_lg_u64 s[22:23], 0
	v_mov_b32_e32 v8, 0
	s_cbranch_scc0 .LBB10_15
; %bb.14:
	s_mul_i32 s3, s13, s6
	s_mul_hi_u32 s7, s12, s6
	s_add_i32 s7, s7, s3
	s_mul_i32 s3, s12, s6
	s_mul_i32 s6, s28, s15
	s_mul_hi_u32 s12, s28, s14
	s_add_i32 s6, s12, s6
	s_mul_i32 s12, s29, s14
	s_add_i32 s6, s6, s12
	s_mul_i32 s12, s28, s14
	s_add_u32 s3, s12, s3
	s_addc_u32 s7, s6, s7
	s_mul_i32 s6, s30, s17
	s_mul_hi_u32 s12, s30, s16
	s_add_i32 s6, s12, s6
	s_mul_i32 s12, s31, s16
	s_add_i32 s12, s6, s12
	s_mul_i32 s6, s30, s16
	s_add_u32 s6, s3, s6
	s_addc_u32 s7, s7, s12
	s_lshr_b64 s[6:7], s[6:7], 1
	s_and_b64 s[0:1], s[0:1], exec
	s_cselect_b32 s1, 0, s7
	s_cselect_b32 s0, 0, s6
	s_lshl_b64 s[0:1], s[0:1], 1
	s_add_u32 s0, s22, s0
	s_addc_u32 s1, s23, s1
	v_lshlrev_b32_e32 v4, 1, v0
	global_load_ushort v4, v4, s[0:1]
	s_waitcnt vmcnt(0)
	v_cvt_f32_f16_e32 v4, v4
	v_mul_f32_e32 v8, v2, v4
.LBB10_15:
	s_waitcnt vmcnt(0)
	v_fmac_f32_e32 v8, s18, v3
	v_mbcnt_lo_u32_b32 v3, -1, 0
	v_mbcnt_hi_u32_b32 v7, -1, v3
	v_and_b32_e32 v3, 0x60, v7
	v_add_u32_e32 v10, 32, v3
	v_xor_b32_e32 v3, 16, v7
	v_cmp_lt_i32_e32 vcc, v3, v10
	s_waitcnt lgkmcnt(0)
	v_max_f32_e64 v2, s2, s2
	v_cndmask_b32_e32 v3, v7, v3, vcc
	v_max_f32_e32 v2, v2, v8
	v_lshlrev_b32_e32 v3, 2, v3
	ds_bpermute_b32 v4, v3, v2
	s_waitcnt lgkmcnt(0)
	v_max_f32_e32 v4, v4, v4
	v_max_f32_e32 v2, v2, v4
	v_xor_b32_e32 v4, 8, v7
	v_cmp_lt_i32_e32 vcc, v4, v10
	v_cndmask_b32_e32 v4, v7, v4, vcc
	v_lshlrev_b32_e32 v4, 2, v4
	ds_bpermute_b32 v5, v4, v2
	s_waitcnt lgkmcnt(0)
	v_max_f32_e32 v5, v5, v5
	v_max_f32_e32 v2, v2, v5
	v_xor_b32_e32 v5, 4, v7
	v_cmp_lt_i32_e32 vcc, v5, v10
	v_cndmask_b32_e32 v5, v7, v5, vcc
	;; [unrolled: 8-line block ×3, first 2 shown]
	v_lshlrev_b32_e32 v6, 2, v2
	ds_bpermute_b32 v11, v6, v9
	v_lshl_add_u32 v2, v0, 2, 0
	ds_write_b32 v2, v8 offset:128
	v_and_b32_e32 v8, 31, v0
	v_lshrrev_b32_e32 v0, 3, v0
	s_waitcnt lgkmcnt(1)
	v_max_f32_e32 v11, v11, v11
	v_max_f32_e32 v9, v9, v11
	v_xor_b32_e32 v11, 1, v7
	v_cmp_lt_i32_e32 vcc, v11, v10
	v_cndmask_b32_e32 v7, v7, v11, vcc
	v_lshlrev_b32_e32 v7, 2, v7
	ds_bpermute_b32 v10, v7, v9
	v_cmp_eq_u32_e32 vcc, 0, v8
	s_and_saveexec_b64 s[0:1], vcc
	s_xor_b64 s[0:1], exec, s[0:1]
	s_cbranch_execz .LBB10_17
; %bb.16:
	s_waitcnt lgkmcnt(0)
	v_max_f32_e32 v10, v10, v10
	v_max_f32_e32 v9, v9, v9
	;; [unrolled: 1-line block ×3, first 2 shown]
	v_add_u32_e32 v10, 0, v0
	ds_write_b32 v10, v9
.LBB10_17:
	s_or_b64 exec, exec, s[0:1]
	v_cmp_gt_u32_e64 s[0:1], 2, v8
	v_mov_b32_e32 v9, 0xff800000
	v_lshl_add_u32 v8, v8, 2, 0
	s_waitcnt lgkmcnt(0)
	s_barrier
	s_and_saveexec_b64 s[2:3], s[0:1]
; %bb.18:
	ds_read_b32 v9, v8
; %bb.19:
	s_or_b64 exec, exec, s[2:3]
	s_waitcnt lgkmcnt(0)
	ds_bpermute_b32 v10, v3, v9
	v_max_f32_e32 v9, v9, v9
	ds_read_b32 v11, v2 offset:128
	s_mov_b32 s2, 0x3fb8aa3b
	s_mov_b32 s6, 0x42b17218
	s_waitcnt lgkmcnt(1)
	v_max_f32_e32 v10, v10, v10
	v_max_f32_e32 v9, v9, v10
	ds_bpermute_b32 v10, v4, v9
	s_waitcnt lgkmcnt(0)
	v_max_f32_e32 v10, v10, v10
	v_max_f32_e32 v9, v9, v10
	ds_bpermute_b32 v10, v5, v9
	;; [unrolled: 4-line block ×4, first 2 shown]
	s_waitcnt lgkmcnt(0)
	v_max_f32_e32 v10, v10, v10
	v_max_f32_e32 v9, v9, v10
	v_sub_f32_e32 v10, v11, v9
	v_mul_f32_e32 v11, 0x3fb8aa3b, v10
	v_fma_f32 v12, v10, s2, -v11
	v_rndne_f32_e32 v13, v11
	v_fmac_f32_e32 v12, 0x32a5705f, v10
	v_sub_f32_e32 v11, v11, v13
	v_add_f32_e32 v11, v11, v12
	v_cvt_i32_f32_e32 v13, v13
	v_exp_f32_e32 v11, v11
	s_mov_b32 s2, 0xc2ce8ed0
	v_cmp_ngt_f32_e64 s[2:3], s2, v10
	v_mov_b32_e32 v12, 0x7f800000
	v_ldexp_f32 v11, v11, v13
	v_cndmask_b32_e64 v11, 0, v11, s[2:3]
	v_cmp_nlt_f32_e64 s[2:3], s6, v10
	v_cndmask_b32_e64 v12, v12, v11, s[2:3]
	ds_bpermute_b32 v10, v3, v12
	ds_write_b32 v2, v12 offset:128
	s_waitcnt lgkmcnt(1)
	v_add_f32_e32 v10, v12, v10
	ds_bpermute_b32 v11, v4, v10
	s_waitcnt lgkmcnt(0)
	v_add_f32_e32 v10, v10, v11
	ds_bpermute_b32 v11, v5, v10
	;; [unrolled: 3-line block ×4, first 2 shown]
	s_and_saveexec_b64 s[2:3], vcc
	s_cbranch_execz .LBB10_21
; %bb.20:
	s_waitcnt lgkmcnt(0)
	v_add_f32_e32 v10, v10, v11
	v_add_u32_e32 v0, 0, v0
	ds_write_b32 v0, v10
.LBB10_21:
	s_or_b64 exec, exec, s[2:3]
	v_mov_b32_e32 v0, 0
	s_waitcnt lgkmcnt(0)
	s_barrier
	s_and_saveexec_b64 s[2:3], s[0:1]
; %bb.22:
	ds_read_b32 v0, v8
; %bb.23:
	s_or_b64 exec, exec, s[2:3]
	s_waitcnt lgkmcnt(0)
	ds_bpermute_b32 v3, v3, v0
	s_lshl_b64 s[0:1], s[8:9], 6
	s_andn2_b64 vcc, exec, s[4:5]
	s_waitcnt lgkmcnt(0)
	v_add_f32_e32 v0, v0, v3
	ds_bpermute_b32 v3, v4, v0
	s_waitcnt lgkmcnt(0)
	v_add_f32_e32 v0, v0, v3
	ds_bpermute_b32 v3, v5, v0
	;; [unrolled: 3-line block ×4, first 2 shown]
	s_waitcnt lgkmcnt(0)
	v_add_f32_e32 v0, v0, v3
	s_cbranch_vccnz .LBB10_25
; %bb.24:
	s_lshl_b64 s[2:3], s[10:11], 2
	s_add_u32 s2, s24, s2
	s_addc_u32 s3, s25, s3
	s_load_dword s2, s[2:3], 0x0
	s_mov_b32 s3, 0x3fb8aa3b
	s_waitcnt lgkmcnt(0)
	v_sub_f32_e32 v3, s2, v9
	v_mul_f32_e32 v4, 0x3fb8aa3b, v3
	v_fma_f32 v5, v3, s3, -v4
	v_rndne_f32_e32 v6, v4
	v_fmac_f32_e32 v5, 0x32a5705f, v3
	v_sub_f32_e32 v4, v4, v6
	v_add_f32_e32 v4, v4, v5
	v_cvt_i32_f32_e32 v6, v6
	v_exp_f32_e32 v4, v4
	s_mov_b32 s2, 0xc2ce8ed0
	s_mov_b32 s3, 0x42b17218
	v_cmp_ngt_f32_e32 vcc, s2, v3
	v_ldexp_f32 v4, v4, v6
	v_cndmask_b32_e32 v4, 0, v4, vcc
	v_mov_b32_e32 v5, 0x7f800000
	v_cmp_nlt_f32_e32 vcc, s3, v3
	v_cndmask_b32_e32 v3, v5, v4, vcc
	v_add_f32_e32 v0, v0, v3
.LBB10_25:
	v_div_scale_f32 v3, s[2:3], v0, v0, 1.0
	v_div_scale_f32 v4, vcc, 1.0, v0, 1.0
	ds_read_b32 v2, v2 offset:128
	s_lshl_b64 s[0:1], s[0:1], 2
	s_add_u32 s0, s26, s0
	s_addc_u32 s1, s27, s1
	v_rcp_f32_e32 v5, v3
	v_fma_f32 v6, -v3, v5, 1.0
	v_fmac_f32_e32 v5, v6, v5
	v_mul_f32_e32 v6, v4, v5
	v_fma_f32 v7, -v3, v6, v4
	v_fmac_f32_e32 v6, v7, v5
	v_fma_f32 v3, -v3, v6, v4
	v_div_fmas_f32 v3, v3, v5, v6
	v_div_fixup_f32 v0, v3, v0, 1.0
	s_waitcnt lgkmcnt(0)
	v_mul_f32_e32 v0, v0, v2
	global_store_dword v1, v0, s[0:1]
	s_endpgm
	.section	.rodata,"a",@progbits
	.p2align	6, 0x0
	.amdhsa_kernel _ZL12soft_max_f32ILb1ELi64ELi64E6__halfEvPKfPKT2_S2_Pf15soft_max_params
		.amdhsa_group_segment_fixed_size 0
		.amdhsa_private_segment_fixed_size 0
		.amdhsa_kernarg_size 416
		.amdhsa_user_sgpr_count 6
		.amdhsa_user_sgpr_private_segment_buffer 1
		.amdhsa_user_sgpr_dispatch_ptr 0
		.amdhsa_user_sgpr_queue_ptr 0
		.amdhsa_user_sgpr_kernarg_segment_ptr 1
		.amdhsa_user_sgpr_dispatch_id 0
		.amdhsa_user_sgpr_flat_scratch_init 0
		.amdhsa_user_sgpr_private_segment_size 0
		.amdhsa_uses_dynamic_stack 0
		.amdhsa_system_sgpr_private_segment_wavefront_offset 0
		.amdhsa_system_sgpr_workgroup_id_x 1
		.amdhsa_system_sgpr_workgroup_id_y 1
		.amdhsa_system_sgpr_workgroup_id_z 1
		.amdhsa_system_sgpr_workgroup_info 0
		.amdhsa_system_vgpr_workitem_id 0
		.amdhsa_next_free_vgpr 14
		.amdhsa_next_free_sgpr 36
		.amdhsa_reserve_vcc 1
		.amdhsa_reserve_flat_scratch 0
		.amdhsa_float_round_mode_32 0
		.amdhsa_float_round_mode_16_64 0
		.amdhsa_float_denorm_mode_32 3
		.amdhsa_float_denorm_mode_16_64 3
		.amdhsa_dx10_clamp 1
		.amdhsa_ieee_mode 1
		.amdhsa_fp16_overflow 0
		.amdhsa_exception_fp_ieee_invalid_op 0
		.amdhsa_exception_fp_denorm_src 0
		.amdhsa_exception_fp_ieee_div_zero 0
		.amdhsa_exception_fp_ieee_overflow 0
		.amdhsa_exception_fp_ieee_underflow 0
		.amdhsa_exception_fp_ieee_inexact 0
		.amdhsa_exception_int_div_zero 0
	.end_amdhsa_kernel
	.section	.text._ZL12soft_max_f32ILb1ELi64ELi64E6__halfEvPKfPKT2_S2_Pf15soft_max_params,"axG",@progbits,_ZL12soft_max_f32ILb1ELi64ELi64E6__halfEvPKfPKT2_S2_Pf15soft_max_params,comdat
.Lfunc_end10:
	.size	_ZL12soft_max_f32ILb1ELi64ELi64E6__halfEvPKfPKT2_S2_Pf15soft_max_params, .Lfunc_end10-_ZL12soft_max_f32ILb1ELi64ELi64E6__halfEvPKfPKT2_S2_Pf15soft_max_params
                                        ; -- End function
	.set _ZL12soft_max_f32ILb1ELi64ELi64E6__halfEvPKfPKT2_S2_Pf15soft_max_params.num_vgpr, 14
	.set _ZL12soft_max_f32ILb1ELi64ELi64E6__halfEvPKfPKT2_S2_Pf15soft_max_params.num_agpr, 0
	.set _ZL12soft_max_f32ILb1ELi64ELi64E6__halfEvPKfPKT2_S2_Pf15soft_max_params.numbered_sgpr, 36
	.set _ZL12soft_max_f32ILb1ELi64ELi64E6__halfEvPKfPKT2_S2_Pf15soft_max_params.num_named_barrier, 0
	.set _ZL12soft_max_f32ILb1ELi64ELi64E6__halfEvPKfPKT2_S2_Pf15soft_max_params.private_seg_size, 0
	.set _ZL12soft_max_f32ILb1ELi64ELi64E6__halfEvPKfPKT2_S2_Pf15soft_max_params.uses_vcc, 1
	.set _ZL12soft_max_f32ILb1ELi64ELi64E6__halfEvPKfPKT2_S2_Pf15soft_max_params.uses_flat_scratch, 0
	.set _ZL12soft_max_f32ILb1ELi64ELi64E6__halfEvPKfPKT2_S2_Pf15soft_max_params.has_dyn_sized_stack, 0
	.set _ZL12soft_max_f32ILb1ELi64ELi64E6__halfEvPKfPKT2_S2_Pf15soft_max_params.has_recursion, 0
	.set _ZL12soft_max_f32ILb1ELi64ELi64E6__halfEvPKfPKT2_S2_Pf15soft_max_params.has_indirect_call, 0
	.section	.AMDGPU.csdata,"",@progbits
; Kernel info:
; codeLenInByte = 3592
; TotalNumSgprs: 40
; NumVgprs: 14
; ScratchSize: 0
; MemoryBound: 0
; FloatMode: 240
; IeeeMode: 1
; LDSByteSize: 0 bytes/workgroup (compile time only)
; SGPRBlocks: 4
; VGPRBlocks: 3
; NumSGPRsForWavesPerEU: 40
; NumVGPRsForWavesPerEU: 14
; Occupancy: 10
; WaveLimiterHint : 1
; COMPUTE_PGM_RSRC2:SCRATCH_EN: 0
; COMPUTE_PGM_RSRC2:USER_SGPR: 6
; COMPUTE_PGM_RSRC2:TRAP_HANDLER: 0
; COMPUTE_PGM_RSRC2:TGID_X_EN: 1
; COMPUTE_PGM_RSRC2:TGID_Y_EN: 1
; COMPUTE_PGM_RSRC2:TGID_Z_EN: 1
; COMPUTE_PGM_RSRC2:TIDIG_COMP_CNT: 0
	.section	.text._ZL12soft_max_f32ILb1ELi32ELi32E6__halfEvPKfPKT2_S2_Pf15soft_max_params,"axG",@progbits,_ZL12soft_max_f32ILb1ELi32ELi32E6__halfEvPKfPKT2_S2_Pf15soft_max_params,comdat
	.globl	_ZL12soft_max_f32ILb1ELi32ELi32E6__halfEvPKfPKT2_S2_Pf15soft_max_params ; -- Begin function _ZL12soft_max_f32ILb1ELi32ELi32E6__halfEvPKfPKT2_S2_Pf15soft_max_params
	.p2align	8
	.type	_ZL12soft_max_f32ILb1ELi32ELi32E6__halfEvPKfPKT2_S2_Pf15soft_max_params,@function
_ZL12soft_max_f32ILb1ELi32ELi32E6__halfEvPKfPKT2_S2_Pf15soft_max_params: ; @_ZL12soft_max_f32ILb1ELi32ELi32E6__halfEvPKfPKT2_S2_Pf15soft_max_params
; %bb.0:
	s_load_dwordx8 s[12:19], s[4:5], 0x68
	s_load_dwordx2 s[0:1], s[4:5], 0x88
	s_mov_b32 s11, 0
	s_mov_b32 s2, s11
	;; [unrolled: 1-line block ×3, first 2 shown]
	s_waitcnt lgkmcnt(0)
	s_mov_b32 s3, s19
	s_cmp_lg_u64 s[2:3], 0
	s_cbranch_scc0 .LBB11_10
; %bb.1:
	s_ashr_i32 s2, s19, 31
	s_add_u32 s20, s18, s2
	s_mov_b32 s3, s2
	s_addc_u32 s21, s19, s2
	s_xor_b64 s[20:21], s[20:21], s[2:3]
	v_cvt_f32_u32_e32 v1, s20
	v_cvt_f32_u32_e32 v2, s21
	s_sub_u32 s7, 0, s20
	s_subb_u32 s9, 0, s21
	v_madmk_f32 v1, v2, 0x4f800000, v1
	v_rcp_f32_e32 v1, v1
	v_mul_f32_e32 v1, 0x5f7ffffc, v1
	v_mul_f32_e32 v2, 0x2f800000, v1
	v_trunc_f32_e32 v2, v2
	v_madmk_f32 v1, v2, 0xcf800000, v1
	v_cvt_u32_f32_e32 v2, v2
	v_cvt_u32_f32_e32 v1, v1
	v_readfirstlane_b32 s19, v2
	v_readfirstlane_b32 s22, v1
	s_mul_i32 s23, s7, s19
	s_mul_hi_u32 s25, s7, s22
	s_mul_i32 s24, s9, s22
	s_add_i32 s23, s25, s23
	s_add_i32 s23, s23, s24
	s_mul_i32 s26, s7, s22
	s_mul_i32 s25, s22, s23
	s_mul_hi_u32 s27, s22, s26
	s_mul_hi_u32 s24, s22, s23
	s_add_u32 s25, s27, s25
	s_addc_u32 s24, 0, s24
	s_mul_hi_u32 s28, s19, s26
	s_mul_i32 s26, s19, s26
	s_add_u32 s25, s25, s26
	s_mul_hi_u32 s27, s19, s23
	s_addc_u32 s24, s24, s28
	s_addc_u32 s25, s27, 0
	s_mul_i32 s23, s19, s23
	s_add_u32 s23, s24, s23
	s_addc_u32 s24, 0, s25
	s_add_u32 s25, s22, s23
	s_cselect_b64 s[22:23], -1, 0
	s_cmp_lg_u64 s[22:23], 0
	s_addc_u32 s19, s19, s24
	s_mul_i32 s22, s7, s19
	s_mul_hi_u32 s23, s7, s25
	s_add_i32 s22, s23, s22
	s_mul_i32 s9, s9, s25
	s_add_i32 s22, s22, s9
	s_mul_i32 s7, s7, s25
	s_mul_hi_u32 s23, s19, s7
	s_mul_i32 s24, s19, s7
	s_mul_i32 s27, s25, s22
	s_mul_hi_u32 s7, s25, s7
	s_mul_hi_u32 s26, s25, s22
	s_add_u32 s7, s7, s27
	s_addc_u32 s26, 0, s26
	s_add_u32 s7, s7, s24
	s_mul_hi_u32 s9, s19, s22
	s_addc_u32 s7, s26, s23
	s_addc_u32 s9, s9, 0
	s_mul_i32 s22, s19, s22
	s_add_u32 s7, s7, s22
	s_addc_u32 s9, 0, s9
	s_add_u32 s7, s25, s7
	s_cselect_b64 s[22:23], -1, 0
	s_cmp_lg_u64 s[22:23], 0
	s_addc_u32 s9, s19, s9
	s_add_u32 s22, s10, 0
	s_addc_u32 s23, 0, 0
	s_xor_b64 s[22:23], s[22:23], 0
	s_mul_i32 s24, s22, s9
	s_mul_hi_u32 s25, s22, s7
	s_mul_hi_u32 s19, s22, s9
	s_add_u32 s24, s25, s24
	s_addc_u32 s19, 0, s19
	s_mul_hi_u32 s26, s23, s7
	s_mul_i32 s7, s23, s7
	s_add_u32 s7, s24, s7
	s_mul_hi_u32 s25, s23, s9
	s_addc_u32 s7, s19, s26
	s_addc_u32 s19, s25, 0
	s_mul_i32 s9, s23, s9
	s_add_u32 s7, s7, s9
	s_addc_u32 s9, 0, s19
	s_mul_i32 s9, s20, s9
	s_mul_hi_u32 s19, s20, s7
	s_add_i32 s9, s19, s9
	s_mul_i32 s19, s21, s7
	s_add_i32 s9, s9, s19
	s_sub_i32 s19, s23, s9
	s_mul_i32 s7, s20, s7
	s_sub_u32 s7, s22, s7
	s_cselect_b64 s[24:25], -1, 0
	s_cmp_lg_u64 s[24:25], 0
	s_subb_u32 s19, s19, s21
	s_sub_u32 s22, s7, s20
	s_cselect_b64 s[26:27], -1, 0
	s_cmp_lg_u64 s[26:27], 0
	s_subb_u32 s28, s19, 0
	s_cmp_ge_u32 s28, s21
	s_cselect_b32 s29, -1, 0
	s_cmp_ge_u32 s22, s20
	s_cselect_b32 s30, -1, 0
	s_cmp_eq_u32 s28, s21
	s_cselect_b32 s29, s30, s29
	s_cmp_lg_u64 s[26:27], 0
	s_subb_u32 s19, s19, s21
	s_sub_u32 s30, s22, s20
	s_cselect_b64 s[26:27], -1, 0
	s_cmp_lg_u64 s[26:27], 0
	s_subb_u32 s19, s19, 0
	s_cmp_lg_u32 s29, 0
	s_cselect_b32 s22, s30, s22
	s_cselect_b32 s19, s19, s28
	s_cmp_lg_u64 s[24:25], 0
	s_subb_u32 s9, s23, s9
	s_cmp_ge_u32 s9, s21
	s_cselect_b32 s23, -1, 0
	s_cmp_ge_u32 s7, s20
	s_cselect_b32 s20, -1, 0
	s_cmp_eq_u32 s9, s21
	s_cselect_b32 s20, s20, s23
	s_cmp_lg_u32 s20, 0
	s_cselect_b32 s21, s19, s9
	s_cselect_b32 s20, s22, s7
	s_xor_b64 s[20:21], s[20:21], 0
	s_sub_u32 s28, s20, 0
	s_subb_u32 s29, s21, 0
	s_cbranch_execnz .LBB11_3
.LBB11_2:
	v_cvt_f32_u32_e32 v1, s18
	s_sub_i32 s2, 0, s18
	s_mov_b32 s29, 0
	v_rcp_iflag_f32_e32 v1, v1
	v_mul_f32_e32 v1, 0x4f7ffffe, v1
	v_cvt_u32_f32_e32 v1, v1
	v_readfirstlane_b32 s3, v1
	s_mul_i32 s2, s2, s3
	s_mul_hi_u32 s2, s3, s2
	s_add_i32 s3, s3, s2
	s_mul_hi_u32 s2, s10, s3
	s_mul_i32 s2, s2, s18
	s_sub_i32 s2, s10, s2
	s_sub_i32 s3, s2, s18
	s_cmp_ge_u32 s2, s18
	s_cselect_b32 s2, s3, s2
	s_sub_i32 s3, s2, s18
	s_cmp_ge_u32 s2, s18
	s_cselect_b32 s28, s3, s2
.LBB11_3:
	s_load_dwordx2 s[18:19], s[4:5], 0x90
	s_mov_b32 s2, 0
	s_mov_b32 s3, s1
	s_cmp_lg_u64 s[2:3], 0
	s_cbranch_scc0 .LBB11_11
; %bb.4:
	s_ashr_i32 s2, s1, 31
	s_add_u32 s20, s0, s2
	s_mov_b32 s3, s2
	s_addc_u32 s21, s1, s2
	s_xor_b64 s[20:21], s[20:21], s[2:3]
	v_cvt_f32_u32_e32 v1, s20
	v_cvt_f32_u32_e32 v2, s21
	s_sub_u32 s1, 0, s20
	s_subb_u32 s7, 0, s21
	v_madmk_f32 v1, v2, 0x4f800000, v1
	v_rcp_f32_e32 v1, v1
	v_mul_f32_e32 v1, 0x5f7ffffc, v1
	v_mul_f32_e32 v2, 0x2f800000, v1
	v_trunc_f32_e32 v2, v2
	v_madmk_f32 v1, v2, 0xcf800000, v1
	v_cvt_u32_f32_e32 v2, v2
	v_cvt_u32_f32_e32 v1, v1
	v_readfirstlane_b32 s9, v2
	v_readfirstlane_b32 s22, v1
	s_mul_i32 s23, s1, s9
	s_mul_hi_u32 s25, s1, s22
	s_mul_i32 s24, s7, s22
	s_add_i32 s23, s25, s23
	s_add_i32 s23, s23, s24
	s_mul_i32 s26, s1, s22
	s_mul_i32 s25, s22, s23
	s_mul_hi_u32 s27, s22, s26
	s_mul_hi_u32 s24, s22, s23
	s_add_u32 s25, s27, s25
	s_addc_u32 s24, 0, s24
	s_mul_hi_u32 s30, s9, s26
	s_mul_i32 s26, s9, s26
	s_add_u32 s25, s25, s26
	s_mul_hi_u32 s27, s9, s23
	s_addc_u32 s24, s24, s30
	s_addc_u32 s25, s27, 0
	s_mul_i32 s23, s9, s23
	s_add_u32 s23, s24, s23
	s_addc_u32 s24, 0, s25
	s_add_u32 s25, s22, s23
	s_cselect_b64 s[22:23], -1, 0
	s_cmp_lg_u64 s[22:23], 0
	s_addc_u32 s9, s9, s24
	s_mul_i32 s22, s1, s9
	s_mul_hi_u32 s23, s1, s25
	s_add_i32 s22, s23, s22
	s_mul_i32 s7, s7, s25
	s_add_i32 s22, s22, s7
	s_mul_i32 s1, s1, s25
	s_mul_hi_u32 s23, s9, s1
	s_mul_i32 s24, s9, s1
	s_mul_i32 s27, s25, s22
	s_mul_hi_u32 s1, s25, s1
	s_mul_hi_u32 s26, s25, s22
	s_add_u32 s1, s1, s27
	s_addc_u32 s26, 0, s26
	s_add_u32 s1, s1, s24
	s_mul_hi_u32 s7, s9, s22
	s_addc_u32 s1, s26, s23
	s_addc_u32 s7, s7, 0
	s_mul_i32 s22, s9, s22
	s_add_u32 s1, s1, s22
	s_addc_u32 s7, 0, s7
	s_add_u32 s1, s25, s1
	s_cselect_b64 s[22:23], -1, 0
	s_cmp_lg_u64 s[22:23], 0
	s_addc_u32 s7, s9, s7
	s_add_u32 s22, s8, 0
	s_addc_u32 s23, 0, 0
	s_xor_b64 s[22:23], s[22:23], 0
	s_mul_i32 s24, s22, s7
	s_mul_hi_u32 s25, s22, s1
	s_mul_hi_u32 s9, s22, s7
	s_add_u32 s24, s25, s24
	s_addc_u32 s9, 0, s9
	s_mul_hi_u32 s26, s23, s1
	s_mul_i32 s1, s23, s1
	s_add_u32 s1, s24, s1
	s_mul_hi_u32 s25, s23, s7
	s_addc_u32 s1, s9, s26
	s_addc_u32 s9, s25, 0
	s_mul_i32 s7, s23, s7
	s_add_u32 s1, s1, s7
	s_addc_u32 s7, 0, s9
	s_mul_i32 s7, s20, s7
	s_mul_hi_u32 s9, s20, s1
	s_add_i32 s7, s9, s7
	s_mul_i32 s9, s21, s1
	s_add_i32 s7, s7, s9
	s_sub_i32 s9, s23, s7
	s_mul_i32 s1, s20, s1
	s_sub_u32 s1, s22, s1
	s_cselect_b64 s[24:25], -1, 0
	s_cmp_lg_u64 s[24:25], 0
	s_subb_u32 s9, s9, s21
	s_sub_u32 s22, s1, s20
	s_cselect_b64 s[26:27], -1, 0
	s_cmp_lg_u64 s[26:27], 0
	s_subb_u32 s30, s9, 0
	s_cmp_ge_u32 s30, s21
	s_cselect_b32 s31, -1, 0
	s_cmp_ge_u32 s22, s20
	s_cselect_b32 s33, -1, 0
	s_cmp_eq_u32 s30, s21
	s_cselect_b32 s31, s33, s31
	s_cmp_lg_u64 s[26:27], 0
	s_subb_u32 s9, s9, s21
	s_sub_u32 s33, s22, s20
	s_cselect_b64 s[26:27], -1, 0
	s_cmp_lg_u64 s[26:27], 0
	s_subb_u32 s9, s9, 0
	s_cmp_lg_u32 s31, 0
	s_cselect_b32 s22, s33, s22
	s_cselect_b32 s9, s9, s30
	s_cmp_lg_u64 s[24:25], 0
	s_subb_u32 s7, s23, s7
	s_cmp_ge_u32 s7, s21
	s_cselect_b32 s23, -1, 0
	s_cmp_ge_u32 s1, s20
	s_cselect_b32 s20, -1, 0
	s_cmp_eq_u32 s7, s21
	s_cselect_b32 s20, s20, s23
	s_cmp_lg_u32 s20, 0
	s_cselect_b32 s21, s9, s7
	s_cselect_b32 s20, s22, s1
	s_xor_b64 s[20:21], s[20:21], 0
	s_sub_u32 s30, s20, 0
	s_subb_u32 s31, s21, 0
	s_cbranch_execnz .LBB11_6
.LBB11_5:
	v_cvt_f32_u32_e32 v1, s0
	s_sub_i32 s1, 0, s0
	s_mov_b32 s31, 0
	v_rcp_iflag_f32_e32 v1, v1
	v_mul_f32_e32 v1, 0x4f7ffffe, v1
	v_cvt_u32_f32_e32 v1, v1
	v_readfirstlane_b32 s2, v1
	s_mul_i32 s1, s1, s2
	s_mul_hi_u32 s1, s2, s1
	s_add_i32 s2, s2, s1
	s_mul_hi_u32 s1, s8, s2
	s_mul_i32 s1, s1, s0
	s_sub_i32 s1, s8, s1
	s_sub_i32 s2, s1, s0
	s_cmp_ge_u32 s1, s0
	s_cselect_b32 s1, s2, s1
	s_sub_i32 s2, s1, s0
	s_cmp_ge_u32 s1, s0
	s_cselect_b32 s30, s2, s1
.LBB11_6:
	s_load_dwordx2 s[34:35], s[4:5], 0xa0
	s_waitcnt lgkmcnt(0)
	v_cmp_le_f32_e64 s[0:1], s19, 0
	s_and_b64 vcc, exec, s[0:1]
	v_mov_b32_e32 v2, 1.0
	s_cbranch_vccnz .LBB11_8
; %bb.7:
	s_load_dword s2, s[4:5], 0x28
	s_load_dwordx2 s[0:1], s[4:5], 0x98
	s_add_i32 s3, s10, 1
	s_waitcnt lgkmcnt(0)
	s_sub_i32 s7, s10, s2
	v_mov_b32_e32 v2, s0
	s_lshl_b32 s0, s7, 1
	s_or_b32 s7, s0, 1
	s_cmp_lt_u32 s10, s2
	s_cselect_b64 vcc, -1, 0
	v_mov_b32_e32 v1, s1
	s_and_b64 s[0:1], vcc, exec
	s_cselect_b32 s0, s3, s7
	v_cndmask_b32_e32 v1, v1, v2, vcc
	v_cvt_f32_i32_e32 v2, s0
	v_cmp_neq_f32_e32 vcc, 1.0, v1
	s_mov_b32 s0, 0x3f2aaaab
	s_movk_i32 s2, 0x204
	v_cndmask_b32_e32 v2, 1.0, v2, vcc
	v_cmp_neq_f32_e32 vcc, 0, v2
	v_cndmask_b32_e32 v1, 1.0, v1, vcc
	v_frexp_mant_f32_e64 v3, |v1|
	v_cmp_gt_f32_e32 vcc, s0, v3
	v_cndmask_b32_e64 v4, 1.0, 2.0, vcc
	v_mul_f32_e32 v3, v3, v4
	v_add_f32_e32 v4, 1.0, v3
	v_rcp_f32_e32 v5, v4
	v_add_f32_e32 v6, -1.0, v3
	v_add_f32_e32 v7, -1.0, v4
	v_sub_f32_e32 v3, v3, v7
	v_mul_f32_e32 v7, v6, v5
	v_mul_f32_e32 v8, v4, v7
	v_fma_f32 v4, v7, v4, -v8
	v_fmac_f32_e32 v4, v7, v3
	v_add_f32_e32 v3, v8, v4
	v_sub_f32_e32 v9, v6, v3
	v_sub_f32_e32 v8, v3, v8
	;; [unrolled: 1-line block ×5, first 2 shown]
	v_add_f32_e32 v3, v4, v3
	v_add_f32_e32 v3, v9, v3
	v_mul_f32_e32 v3, v5, v3
	v_add_f32_e32 v5, v7, v3
	v_sub_f32_e32 v4, v5, v7
	v_sub_f32_e32 v6, v3, v4
	v_mul_f32_e32 v3, v5, v5
	v_fma_f32 v4, v5, v5, -v3
	v_add_f32_e32 v7, v6, v6
	v_fmac_f32_e32 v4, v5, v7
	v_add_f32_e32 v7, v3, v4
	v_mov_b32_e32 v8, 0x3e91f4c4
	v_sub_f32_e32 v3, v7, v3
	v_fmac_f32_e32 v8, 0x3e76c4e1, v7
	v_mov_b32_e32 v9, 0x3ecccdef
	v_sub_f32_e32 v3, v4, v3
	v_mul_f32_e32 v4, v5, v7
	v_fmac_f32_e32 v9, v7, v8
	v_fma_f32 v8, v7, v5, -v4
	v_fmac_f32_e32 v8, v7, v6
	v_fmac_f32_e32 v8, v3, v5
	v_add_f32_e32 v10, v4, v8
	v_sub_f32_e32 v4, v10, v4
	v_sub_f32_e32 v8, v8, v4
	v_mul_f32_e32 v4, v7, v9
	v_fma_f32 v7, v7, v9, -v4
	v_fmac_f32_e32 v7, v3, v9
	v_add_f32_e32 v9, v4, v7
	v_sub_f32_e32 v3, v9, v4
	v_sub_f32_e32 v7, v7, v3
	v_cvt_f64_f32_e64 v[3:4], |v1|
	v_add_f32_e32 v11, 0x3f2aaaaa, v9
	v_add_f32_e32 v12, 0xbf2aaaaa, v11
	v_add_f32_e32 v7, 0x31739010, v7
	v_frexp_exp_i32_f64_e32 v3, v[3:4]
	v_sub_f32_e32 v9, v9, v12
	v_add_f32_e32 v4, v7, v9
	v_add_f32_e32 v7, v11, v4
	v_sub_f32_e32 v9, v11, v7
	v_add_f32_e32 v4, v4, v9
	v_mul_f32_e32 v9, v10, v7
	v_fma_f32 v11, v10, v7, -v9
	v_subbrev_co_u32_e32 v3, vcc, 0, v3, vcc
	v_cvt_f32_i32_e32 v3, v3
	v_fmac_f32_e32 v11, v10, v4
	s_mov_b32 s0, 0x3f317218
	v_fmac_f32_e32 v11, v8, v7
	v_mul_f32_e32 v4, 0x3f317218, v3
	v_fma_f32 v7, v3, s0, -v4
	v_fmac_f32_e32 v7, 0xb102e308, v3
	v_ldexp_f32 v3, v6, 1
	v_add_f32_e32 v6, v4, v7
	v_sub_f32_e32 v4, v6, v4
	v_ldexp_f32 v5, v5, 1
	v_sub_f32_e32 v4, v7, v4
	v_add_f32_e32 v7, v9, v11
	v_sub_f32_e32 v8, v7, v9
	v_add_f32_e32 v9, v5, v7
	v_sub_f32_e32 v8, v11, v8
	v_sub_f32_e32 v5, v9, v5
	;; [unrolled: 1-line block ×3, first 2 shown]
	v_add_f32_e32 v3, v3, v8
	v_add_f32_e32 v3, v3, v5
	;; [unrolled: 1-line block ×3, first 2 shown]
	v_sub_f32_e32 v7, v5, v9
	v_sub_f32_e32 v3, v3, v7
	v_add_f32_e32 v7, v6, v5
	v_sub_f32_e32 v8, v7, v6
	v_sub_f32_e32 v9, v7, v8
	;; [unrolled: 1-line block ×4, first 2 shown]
	v_add_f32_e32 v5, v5, v6
	v_add_f32_e32 v6, v4, v3
	v_sub_f32_e32 v8, v6, v4
	v_sub_f32_e32 v9, v6, v8
	;; [unrolled: 1-line block ×4, first 2 shown]
	v_add_f32_e32 v3, v3, v4
	v_add_f32_e32 v4, v6, v5
	;; [unrolled: 1-line block ×3, first 2 shown]
	v_sub_f32_e32 v6, v5, v7
	v_sub_f32_e32 v4, v4, v6
	v_add_f32_e32 v3, v3, v4
	v_add_f32_e32 v4, v5, v3
	v_sub_f32_e32 v5, v4, v5
	v_sub_f32_e32 v3, v3, v5
	v_mul_f32_e32 v5, v2, v4
	v_fma_f32 v4, v2, v4, -v5
	v_fmac_f32_e32 v4, v2, v3
	v_add_f32_e32 v3, v5, v4
	v_cmp_class_f32_e64 vcc, v5, s2
	v_sub_f32_e32 v6, v3, v5
	v_cndmask_b32_e32 v3, v3, v5, vcc
	s_mov_b32 s1, 0x42b17218
	v_mov_b32_e32 v5, 0x37000000
	v_cmp_eq_f32_e32 vcc, s1, v3
	v_cndmask_b32_e32 v5, 0, v5, vcc
	v_sub_f32_e32 v4, v4, v6
	v_sub_f32_e32 v6, v3, v5
	s_mov_b32 s3, 0x3fb8aa3b
	v_mul_f32_e32 v7, 0x3fb8aa3b, v6
	v_fma_f32 v8, v6, s3, -v7
	v_rndne_f32_e32 v9, v7
	v_fmac_f32_e32 v8, 0x32a5705f, v6
	v_sub_f32_e32 v7, v7, v9
	v_add_f32_e32 v7, v7, v8
	v_exp_f32_e32 v7, v7
	v_cvt_i32_f32_e32 v8, v9
	s_mov_b32 s0, 0x7f800000
	v_cmp_neq_f32_e64 vcc, |v3|, s0
	s_mov_b32 s0, 0xc2ce8ed0
	v_cndmask_b32_e32 v3, 0, v4, vcc
	v_ldexp_f32 v4, v7, v8
	v_cmp_ngt_f32_e32 vcc, s0, v6
	v_add_f32_e32 v3, v5, v3
	v_cndmask_b32_e32 v4, 0, v4, vcc
	v_mov_b32_e32 v5, 0x7f800000
	v_cmp_nlt_f32_e32 vcc, s1, v6
	v_cndmask_b32_e32 v4, v5, v4, vcc
	v_fma_f32 v3, v4, v3, v4
	v_cmp_class_f32_e64 vcc, v4, s2
	v_cndmask_b32_e32 v3, v3, v4, vcc
	v_trunc_f32_e32 v4, v2
	v_cmp_eq_f32_e32 vcc, v4, v2
	v_mul_f32_e32 v4, 0.5, v2
	v_trunc_f32_e32 v7, v4
	v_cmp_neq_f32_e64 s[0:1], v7, v4
	s_and_b64 s[0:1], vcc, s[0:1]
	v_cndmask_b32_e64 v4, 1.0, v1, s[0:1]
	s_brev_b32 s7, -2
	v_mov_b32_e32 v6, 0x7fc00000
	v_bfi_b32 v3, s7, v3, v4
	v_cndmask_b32_e32 v4, v6, v3, vcc
	v_cmp_gt_f32_e32 vcc, 0, v1
	v_cndmask_b32_e32 v3, v3, v4, vcc
	v_cmp_class_f32_e64 s[20:21], v1, s2
	v_cmp_eq_f32_e32 vcc, 0, v1
	v_cmp_gt_f32_e64 s[2:3], 0, v2
	s_xor_b64 s[2:3], s[2:3], vcc
	v_cndmask_b32_e64 v2, v5, 0, s[2:3]
	v_cndmask_b32_e64 v4, 0, v1, s[0:1]
	v_bfi_b32 v2, s7, v2, v4
	s_or_b64 vcc, vcc, s[20:21]
	v_cndmask_b32_e32 v2, v3, v2, vcc
	v_cmp_o_f32_e32 vcc, v1, v1
	v_cndmask_b32_e32 v2, v6, v2, vcc
.LBB11_8:
	s_load_dwordx8 s[20:27], s[4:5], 0x0
	s_waitcnt lgkmcnt(0)
	s_cmp_lg_u64 s[24:25], 0
	s_cselect_b64 s[0:1], -1, 0
	s_cmp_eq_u64 s[24:25], 0
	s_cbranch_scc1 .LBB11_12
; %bb.9:
	s_lshl_b64 s[2:3], s[10:11], 2
	s_add_u32 s2, s24, s2
	s_addc_u32 s3, s25, s3
	s_load_dword s7, s[2:3], 0x0
	s_branch .LBB11_13
.LBB11_10:
                                        ; implicit-def: $sgpr28_sgpr29
	s_branch .LBB11_2
.LBB11_11:
                                        ; implicit-def: $sgpr30_sgpr31
	s_branch .LBB11_5
.LBB11_12:
	s_mov_b32 s7, 0xff800000
.LBB11_13:
	s_mul_i32 s2, s35, s8
	s_add_i32 s2, s2, s10
	s_mul_i32 s2, s2, s34
	s_add_i32 s2, s2, s6
	s_ashr_i32 s3, s2, 31
	s_lshl_b64 s[4:5], s[2:3], 7
	s_add_u32 s4, s20, s4
	s_addc_u32 s5, s21, s5
	v_lshlrev_b32_e32 v1, 2, v0
	global_load_dword v4, v1, s[4:5]
	s_cmp_eq_u64 s[22:23], 0
	s_cselect_b64 s[4:5], -1, 0
	v_mov_b32_e32 v3, 0
	s_and_b64 vcc, exec, s[4:5]
	s_cbranch_vccnz .LBB11_15
; %bb.14:
	s_mul_i32 s8, s13, s6
	s_mul_hi_u32 s9, s12, s6
	s_add_i32 s9, s9, s8
	s_mul_i32 s6, s12, s6
	s_mul_i32 s8, s28, s15
	s_mul_hi_u32 s12, s28, s14
	s_add_i32 s8, s12, s8
	s_mul_i32 s12, s29, s14
	s_add_i32 s8, s8, s12
	s_mul_i32 s12, s28, s14
	s_add_u32 s6, s12, s6
	s_addc_u32 s9, s8, s9
	s_mul_i32 s8, s30, s17
	s_mul_hi_u32 s12, s30, s16
	s_add_i32 s8, s12, s8
	s_mul_i32 s12, s31, s16
	s_add_i32 s12, s8, s12
	s_mul_i32 s8, s30, s16
	s_add_u32 s8, s6, s8
	s_addc_u32 s9, s9, s12
	s_lshr_b64 s[8:9], s[8:9], 1
	s_and_b64 s[4:5], exec, s[4:5]
	s_cselect_b32 s5, 0, s9
	s_cselect_b32 s4, 0, s8
	s_lshl_b64 s[4:5], s[4:5], 1
	s_add_u32 s4, s22, s4
	s_addc_u32 s5, s23, s5
	v_lshlrev_b32_e32 v3, 1, v0
	global_load_ushort v3, v3, s[4:5]
	s_waitcnt vmcnt(0)
	v_cvt_f32_f16_e32 v3, v3
	v_mul_f32_e32 v3, v2, v3
.LBB11_15:
	s_waitcnt vmcnt(0)
	v_fmac_f32_e32 v3, s18, v4
	v_mbcnt_lo_u32_b32 v4, -1, 0
	v_mbcnt_hi_u32_b32 v4, -1, v4
	v_and_b32_e32 v5, 0x60, v4
	v_add_u32_e32 v5, 32, v5
	v_xor_b32_e32 v6, 16, v4
	v_cmp_lt_i32_e32 vcc, v6, v5
	s_waitcnt lgkmcnt(0)
	v_max_f32_e64 v2, s7, s7
	v_cndmask_b32_e32 v6, v4, v6, vcc
	v_max_f32_e32 v2, v2, v3
	v_lshlrev_b32_e32 v6, 2, v6
	ds_bpermute_b32 v7, v6, v2
	s_mov_b32 s5, 0x3fb8aa3b
	s_mov_b32 s4, 0xc2ce8ed0
	;; [unrolled: 1-line block ×3, first 2 shown]
	v_lshl_add_u32 v0, v0, 2, 0
	s_waitcnt lgkmcnt(0)
	v_max_f32_e32 v7, v7, v7
	v_max_f32_e32 v2, v2, v7
	v_xor_b32_e32 v7, 8, v4
	v_cmp_lt_i32_e32 vcc, v7, v5
	v_cndmask_b32_e32 v7, v4, v7, vcc
	v_lshlrev_b32_e32 v7, 2, v7
	ds_bpermute_b32 v8, v7, v2
	s_lshl_b64 s[2:3], s[2:3], 5
	s_waitcnt lgkmcnt(0)
	v_max_f32_e32 v8, v8, v8
	v_max_f32_e32 v2, v2, v8
	v_xor_b32_e32 v8, 4, v4
	v_cmp_lt_i32_e32 vcc, v8, v5
	v_cndmask_b32_e32 v8, v4, v8, vcc
	v_lshlrev_b32_e32 v8, 2, v8
	ds_bpermute_b32 v9, v8, v2
	s_waitcnt lgkmcnt(0)
	v_max_f32_e32 v9, v9, v9
	v_max_f32_e32 v2, v2, v9
	v_xor_b32_e32 v9, 2, v4
	v_cmp_lt_i32_e32 vcc, v9, v5
	v_cndmask_b32_e32 v9, v4, v9, vcc
	v_lshlrev_b32_e32 v9, 2, v9
	ds_bpermute_b32 v10, v9, v2
	;; [unrolled: 8-line block ×3, first 2 shown]
	s_waitcnt lgkmcnt(0)
	v_max_f32_e32 v4, v4, v4
	v_max_f32_e32 v4, v2, v4
	v_sub_f32_e32 v2, v3, v4
	v_mul_f32_e32 v3, 0x3fb8aa3b, v2
	v_fma_f32 v10, v2, s5, -v3
	v_rndne_f32_e32 v11, v3
	v_fmac_f32_e32 v10, 0x32a5705f, v2
	v_sub_f32_e32 v3, v3, v11
	v_add_f32_e32 v3, v3, v10
	v_exp_f32_e32 v3, v3
	v_cvt_i32_f32_e32 v10, v11
	v_cmp_ngt_f32_e32 vcc, s4, v2
	v_ldexp_f32 v3, v3, v10
	v_cndmask_b32_e32 v10, 0, v3, vcc
	v_mov_b32_e32 v3, 0x7f800000
	v_cmp_nlt_f32_e32 vcc, s6, v2
	v_cndmask_b32_e32 v2, v3, v10, vcc
	ds_bpermute_b32 v6, v6, v2
	ds_write_b32 v0, v2 offset:128
	s_andn2_b64 vcc, exec, s[0:1]
	s_waitcnt lgkmcnt(1)
	v_add_f32_e32 v6, v2, v6
	ds_bpermute_b32 v7, v7, v6
	s_waitcnt lgkmcnt(0)
	v_add_f32_e32 v6, v6, v7
	ds_bpermute_b32 v7, v8, v6
	;; [unrolled: 3-line block ×4, first 2 shown]
	s_waitcnt lgkmcnt(0)
	v_add_f32_e32 v0, v6, v5
	s_cbranch_vccnz .LBB11_17
; %bb.16:
	s_lshl_b64 s[0:1], s[10:11], 2
	s_add_u32 s0, s24, s0
	s_addc_u32 s1, s25, s1
	s_load_dword s0, s[0:1], 0x0
	s_waitcnt lgkmcnt(0)
	v_sub_f32_e32 v4, s0, v4
	v_mul_f32_e32 v5, 0x3fb8aa3b, v4
	v_fma_f32 v6, v4, s5, -v5
	v_rndne_f32_e32 v7, v5
	v_fmac_f32_e32 v6, 0x32a5705f, v4
	v_sub_f32_e32 v5, v5, v7
	v_add_f32_e32 v5, v5, v6
	v_cvt_i32_f32_e32 v7, v7
	v_exp_f32_e32 v5, v5
	v_cmp_ngt_f32_e32 vcc, s4, v4
	v_ldexp_f32 v5, v5, v7
	v_cndmask_b32_e32 v5, 0, v5, vcc
	v_cmp_nlt_f32_e32 vcc, s6, v4
	v_cndmask_b32_e32 v3, v3, v5, vcc
	v_add_f32_e32 v0, v0, v3
.LBB11_17:
	v_div_scale_f32 v3, s[0:1], v0, v0, 1.0
	v_div_scale_f32 v4, vcc, 1.0, v0, 1.0
	s_lshl_b64 s[0:1], s[2:3], 2
	s_add_u32 s0, s26, s0
	s_addc_u32 s1, s27, s1
	v_rcp_f32_e32 v5, v3
	v_fma_f32 v6, -v3, v5, 1.0
	v_fmac_f32_e32 v5, v6, v5
	v_mul_f32_e32 v6, v4, v5
	v_fma_f32 v7, -v3, v6, v4
	v_fmac_f32_e32 v6, v7, v5
	v_fma_f32 v3, -v3, v6, v4
	v_div_fmas_f32 v3, v3, v5, v6
	v_div_fixup_f32 v0, v3, v0, 1.0
	v_mul_f32_e32 v0, v0, v2
	global_store_dword v1, v0, s[0:1]
	s_endpgm
	.section	.rodata,"a",@progbits
	.p2align	6, 0x0
	.amdhsa_kernel _ZL12soft_max_f32ILb1ELi32ELi32E6__halfEvPKfPKT2_S2_Pf15soft_max_params
		.amdhsa_group_segment_fixed_size 0
		.amdhsa_private_segment_fixed_size 0
		.amdhsa_kernarg_size 416
		.amdhsa_user_sgpr_count 6
		.amdhsa_user_sgpr_private_segment_buffer 1
		.amdhsa_user_sgpr_dispatch_ptr 0
		.amdhsa_user_sgpr_queue_ptr 0
		.amdhsa_user_sgpr_kernarg_segment_ptr 1
		.amdhsa_user_sgpr_dispatch_id 0
		.amdhsa_user_sgpr_flat_scratch_init 0
		.amdhsa_user_sgpr_private_segment_size 0
		.amdhsa_uses_dynamic_stack 0
		.amdhsa_system_sgpr_private_segment_wavefront_offset 0
		.amdhsa_system_sgpr_workgroup_id_x 1
		.amdhsa_system_sgpr_workgroup_id_y 1
		.amdhsa_system_sgpr_workgroup_id_z 1
		.amdhsa_system_sgpr_workgroup_info 0
		.amdhsa_system_vgpr_workitem_id 0
		.amdhsa_next_free_vgpr 13
		.amdhsa_next_free_sgpr 36
		.amdhsa_reserve_vcc 1
		.amdhsa_reserve_flat_scratch 0
		.amdhsa_float_round_mode_32 0
		.amdhsa_float_round_mode_16_64 0
		.amdhsa_float_denorm_mode_32 3
		.amdhsa_float_denorm_mode_16_64 3
		.amdhsa_dx10_clamp 1
		.amdhsa_ieee_mode 1
		.amdhsa_fp16_overflow 0
		.amdhsa_exception_fp_ieee_invalid_op 0
		.amdhsa_exception_fp_denorm_src 0
		.amdhsa_exception_fp_ieee_div_zero 0
		.amdhsa_exception_fp_ieee_overflow 0
		.amdhsa_exception_fp_ieee_underflow 0
		.amdhsa_exception_fp_ieee_inexact 0
		.amdhsa_exception_int_div_zero 0
	.end_amdhsa_kernel
	.section	.text._ZL12soft_max_f32ILb1ELi32ELi32E6__halfEvPKfPKT2_S2_Pf15soft_max_params,"axG",@progbits,_ZL12soft_max_f32ILb1ELi32ELi32E6__halfEvPKfPKT2_S2_Pf15soft_max_params,comdat
.Lfunc_end11:
	.size	_ZL12soft_max_f32ILb1ELi32ELi32E6__halfEvPKfPKT2_S2_Pf15soft_max_params, .Lfunc_end11-_ZL12soft_max_f32ILb1ELi32ELi32E6__halfEvPKfPKT2_S2_Pf15soft_max_params
                                        ; -- End function
	.set _ZL12soft_max_f32ILb1ELi32ELi32E6__halfEvPKfPKT2_S2_Pf15soft_max_params.num_vgpr, 13
	.set _ZL12soft_max_f32ILb1ELi32ELi32E6__halfEvPKfPKT2_S2_Pf15soft_max_params.num_agpr, 0
	.set _ZL12soft_max_f32ILb1ELi32ELi32E6__halfEvPKfPKT2_S2_Pf15soft_max_params.numbered_sgpr, 36
	.set _ZL12soft_max_f32ILb1ELi32ELi32E6__halfEvPKfPKT2_S2_Pf15soft_max_params.num_named_barrier, 0
	.set _ZL12soft_max_f32ILb1ELi32ELi32E6__halfEvPKfPKT2_S2_Pf15soft_max_params.private_seg_size, 0
	.set _ZL12soft_max_f32ILb1ELi32ELi32E6__halfEvPKfPKT2_S2_Pf15soft_max_params.uses_vcc, 1
	.set _ZL12soft_max_f32ILb1ELi32ELi32E6__halfEvPKfPKT2_S2_Pf15soft_max_params.uses_flat_scratch, 0
	.set _ZL12soft_max_f32ILb1ELi32ELi32E6__halfEvPKfPKT2_S2_Pf15soft_max_params.has_dyn_sized_stack, 0
	.set _ZL12soft_max_f32ILb1ELi32ELi32E6__halfEvPKfPKT2_S2_Pf15soft_max_params.has_recursion, 0
	.set _ZL12soft_max_f32ILb1ELi32ELi32E6__halfEvPKfPKT2_S2_Pf15soft_max_params.has_indirect_call, 0
	.section	.AMDGPU.csdata,"",@progbits
; Kernel info:
; codeLenInByte = 3180
; TotalNumSgprs: 40
; NumVgprs: 13
; ScratchSize: 0
; MemoryBound: 0
; FloatMode: 240
; IeeeMode: 1
; LDSByteSize: 0 bytes/workgroup (compile time only)
; SGPRBlocks: 4
; VGPRBlocks: 3
; NumSGPRsForWavesPerEU: 40
; NumVGPRsForWavesPerEU: 13
; Occupancy: 10
; WaveLimiterHint : 1
; COMPUTE_PGM_RSRC2:SCRATCH_EN: 0
; COMPUTE_PGM_RSRC2:USER_SGPR: 6
; COMPUTE_PGM_RSRC2:TRAP_HANDLER: 0
; COMPUTE_PGM_RSRC2:TGID_X_EN: 1
; COMPUTE_PGM_RSRC2:TGID_Y_EN: 1
; COMPUTE_PGM_RSRC2:TGID_Z_EN: 1
; COMPUTE_PGM_RSRC2:TIDIG_COMP_CNT: 0
	.section	.text._ZL12soft_max_f32ILb1ELi0ELi0E6__halfEvPKfPKT2_S2_Pf15soft_max_params,"axG",@progbits,_ZL12soft_max_f32ILb1ELi0ELi0E6__halfEvPKfPKT2_S2_Pf15soft_max_params,comdat
	.globl	_ZL12soft_max_f32ILb1ELi0ELi0E6__halfEvPKfPKT2_S2_Pf15soft_max_params ; -- Begin function _ZL12soft_max_f32ILb1ELi0ELi0E6__halfEvPKfPKT2_S2_Pf15soft_max_params
	.p2align	8
	.type	_ZL12soft_max_f32ILb1ELi0ELi0E6__halfEvPKfPKT2_S2_Pf15soft_max_params,@function
_ZL12soft_max_f32ILb1ELi0ELi0E6__halfEvPKfPKT2_S2_Pf15soft_max_params: ; @_ZL12soft_max_f32ILb1ELi0ELi0E6__halfEvPKfPKT2_S2_Pf15soft_max_params
; %bb.0:
	s_add_u32 flat_scratch_lo, s6, s11
	s_addc_u32 flat_scratch_hi, s7, 0
	s_load_dwordx8 s[16:23], s[4:5], 0x68
	s_load_dwordx2 s[6:7], s[4:5], 0x88
	s_add_u32 s0, s0, s11
	s_addc_u32 s1, s1, 0
	s_mov_b32 s27, 0
	s_add_u32 s24, s4, 0xa0
	s_addc_u32 s25, s5, 0
	s_mov_b32 s12, s27
	s_waitcnt lgkmcnt(0)
	s_mov_b32 s13, s23
	s_mov_b32 s26, s9
	s_cmp_lg_u64 s[12:13], 0
	s_mov_b32 s32, 0
	s_cbranch_scc0 .LBB12_10
; %bb.1:
	s_ashr_i32 s12, s23, 31
	s_add_u32 s14, s22, s12
	s_mov_b32 s13, s12
	s_addc_u32 s15, s23, s12
	s_xor_b64 s[14:15], s[14:15], s[12:13]
	v_cvt_f32_u32_e32 v1, s14
	v_cvt_f32_u32_e32 v2, s15
	s_sub_u32 s9, 0, s14
	s_subb_u32 s11, 0, s15
	v_madmk_f32 v1, v2, 0x4f800000, v1
	v_rcp_f32_e32 v1, v1
	v_mul_f32_e32 v1, 0x5f7ffffc, v1
	v_mul_f32_e32 v2, 0x2f800000, v1
	v_trunc_f32_e32 v2, v2
	v_madmk_f32 v1, v2, 0xcf800000, v1
	v_cvt_u32_f32_e32 v2, v2
	v_cvt_u32_f32_e32 v1, v1
	v_readfirstlane_b32 s23, v2
	v_readfirstlane_b32 s28, v1
	s_mul_i32 s29, s9, s23
	s_mul_hi_u32 s31, s9, s28
	s_mul_i32 s30, s11, s28
	s_add_i32 s29, s31, s29
	s_add_i32 s29, s29, s30
	s_mul_i32 s33, s9, s28
	s_mul_i32 s31, s28, s29
	s_mul_hi_u32 s34, s28, s33
	s_mul_hi_u32 s30, s28, s29
	s_add_u32 s31, s34, s31
	s_addc_u32 s30, 0, s30
	s_mul_hi_u32 s35, s23, s33
	s_mul_i32 s33, s23, s33
	s_add_u32 s31, s31, s33
	s_mul_hi_u32 s34, s23, s29
	s_addc_u32 s30, s30, s35
	s_addc_u32 s31, s34, 0
	s_mul_i32 s29, s23, s29
	s_add_u32 s29, s30, s29
	s_addc_u32 s30, 0, s31
	s_add_u32 s31, s28, s29
	s_cselect_b64 s[28:29], -1, 0
	s_cmp_lg_u64 s[28:29], 0
	s_addc_u32 s23, s23, s30
	s_mul_i32 s28, s9, s23
	s_mul_hi_u32 s29, s9, s31
	s_add_i32 s28, s29, s28
	s_mul_i32 s11, s11, s31
	s_add_i32 s28, s28, s11
	s_mul_i32 s9, s9, s31
	s_mul_hi_u32 s29, s23, s9
	s_mul_i32 s30, s23, s9
	s_mul_i32 s34, s31, s28
	s_mul_hi_u32 s9, s31, s9
	s_mul_hi_u32 s33, s31, s28
	s_add_u32 s9, s9, s34
	s_addc_u32 s33, 0, s33
	s_add_u32 s9, s9, s30
	s_mul_hi_u32 s11, s23, s28
	s_addc_u32 s9, s33, s29
	s_addc_u32 s11, s11, 0
	s_mul_i32 s28, s23, s28
	s_add_u32 s9, s9, s28
	s_addc_u32 s11, 0, s11
	s_add_u32 s9, s31, s9
	s_cselect_b64 s[28:29], -1, 0
	s_cmp_lg_u64 s[28:29], 0
	s_addc_u32 s11, s23, s11
	s_add_u32 s28, s26, 0
	s_addc_u32 s29, 0, 0
	s_xor_b64 s[28:29], s[28:29], 0
	s_mul_i32 s30, s28, s11
	s_mul_hi_u32 s31, s28, s9
	s_mul_hi_u32 s23, s28, s11
	s_add_u32 s30, s31, s30
	s_addc_u32 s23, 0, s23
	s_mul_hi_u32 s33, s29, s9
	s_mul_i32 s9, s29, s9
	s_add_u32 s9, s30, s9
	s_mul_hi_u32 s31, s29, s11
	s_addc_u32 s9, s23, s33
	s_addc_u32 s23, s31, 0
	s_mul_i32 s11, s29, s11
	s_add_u32 s9, s9, s11
	s_addc_u32 s11, 0, s23
	s_mul_i32 s11, s14, s11
	s_mul_hi_u32 s23, s14, s9
	s_add_i32 s11, s23, s11
	s_mul_i32 s23, s15, s9
	s_add_i32 s11, s11, s23
	s_sub_i32 s23, s29, s11
	s_mul_i32 s9, s14, s9
	s_sub_u32 s9, s28, s9
	s_cselect_b64 s[30:31], -1, 0
	s_cmp_lg_u64 s[30:31], 0
	s_subb_u32 s23, s23, s15
	s_sub_u32 s28, s9, s14
	s_cselect_b64 s[34:35], -1, 0
	s_cmp_lg_u64 s[34:35], 0
	s_subb_u32 s33, s23, 0
	s_cmp_ge_u32 s33, s15
	s_cselect_b32 s36, -1, 0
	s_cmp_ge_u32 s28, s14
	s_cselect_b32 s37, -1, 0
	s_cmp_eq_u32 s33, s15
	s_cselect_b32 s36, s37, s36
	s_cmp_lg_u64 s[34:35], 0
	s_subb_u32 s23, s23, s15
	s_sub_u32 s37, s28, s14
	s_cselect_b64 s[34:35], -1, 0
	s_cmp_lg_u64 s[34:35], 0
	s_subb_u32 s23, s23, 0
	s_cmp_lg_u32 s36, 0
	s_cselect_b32 s28, s37, s28
	s_cselect_b32 s23, s23, s33
	s_cmp_lg_u64 s[30:31], 0
	s_subb_u32 s11, s29, s11
	s_cmp_ge_u32 s11, s15
	s_cselect_b32 s29, -1, 0
	s_cmp_ge_u32 s9, s14
	s_cselect_b32 s14, -1, 0
	s_cmp_eq_u32 s11, s15
	s_cselect_b32 s14, s14, s29
	s_cmp_lg_u32 s14, 0
	s_cselect_b32 s15, s23, s11
	s_cselect_b32 s14, s28, s9
	s_xor_b64 s[14:15], s[14:15], 0
	s_sub_u32 s30, s14, 0
	s_subb_u32 s31, s15, 0
	s_cbranch_execnz .LBB12_3
.LBB12_2:
	v_cvt_f32_u32_e32 v1, s22
	s_sub_i32 s9, 0, s22
	s_mov_b32 s31, 0
	v_rcp_iflag_f32_e32 v1, v1
	v_mul_f32_e32 v1, 0x4f7ffffe, v1
	v_cvt_u32_f32_e32 v1, v1
	v_readfirstlane_b32 s11, v1
	s_mul_i32 s9, s9, s11
	s_mul_hi_u32 s9, s11, s9
	s_add_i32 s11, s11, s9
	s_mul_hi_u32 s9, s26, s11
	s_mul_i32 s9, s9, s22
	s_sub_i32 s9, s26, s9
	s_sub_i32 s11, s9, s22
	s_cmp_ge_u32 s9, s22
	s_cselect_b32 s9, s11, s9
	s_sub_i32 s11, s9, s22
	s_cmp_ge_u32 s9, s22
	s_cselect_b32 s30, s11, s9
.LBB12_3:
	s_load_dwordx2 s[14:15], s[4:5], 0x90
	s_mov_b32 s12, 0
	s_mov_b32 s13, s7
	s_cmp_lg_u64 s[12:13], 0
	s_cbranch_scc0 .LBB12_11
; %bb.4:
	s_ashr_i32 s12, s7, 31
	s_add_u32 s22, s6, s12
	s_mov_b32 s13, s12
	s_addc_u32 s23, s7, s12
	s_xor_b64 s[22:23], s[22:23], s[12:13]
	v_cvt_f32_u32_e32 v1, s22
	v_cvt_f32_u32_e32 v2, s23
	s_sub_u32 s7, 0, s22
	s_subb_u32 s9, 0, s23
	v_madmk_f32 v1, v2, 0x4f800000, v1
	v_rcp_f32_e32 v1, v1
	v_mul_f32_e32 v1, 0x5f7ffffc, v1
	v_mul_f32_e32 v2, 0x2f800000, v1
	v_trunc_f32_e32 v2, v2
	v_madmk_f32 v1, v2, 0xcf800000, v1
	v_cvt_u32_f32_e32 v2, v2
	v_cvt_u32_f32_e32 v1, v1
	v_readfirstlane_b32 s11, v2
	v_readfirstlane_b32 s28, v1
	s_mul_i32 s29, s7, s11
	s_mul_hi_u32 s34, s7, s28
	s_mul_i32 s33, s9, s28
	s_add_i32 s29, s34, s29
	s_add_i32 s29, s29, s33
	s_mul_i32 s35, s7, s28
	s_mul_i32 s34, s28, s29
	s_mul_hi_u32 s36, s28, s35
	s_mul_hi_u32 s33, s28, s29
	s_add_u32 s34, s36, s34
	s_addc_u32 s33, 0, s33
	s_mul_hi_u32 s37, s11, s35
	s_mul_i32 s35, s11, s35
	s_add_u32 s34, s34, s35
	s_mul_hi_u32 s36, s11, s29
	s_addc_u32 s33, s33, s37
	s_addc_u32 s34, s36, 0
	s_mul_i32 s29, s11, s29
	s_add_u32 s29, s33, s29
	s_addc_u32 s33, 0, s34
	s_add_u32 s34, s28, s29
	s_cselect_b64 s[28:29], -1, 0
	s_cmp_lg_u64 s[28:29], 0
	s_addc_u32 s11, s11, s33
	s_mul_i32 s28, s7, s11
	s_mul_hi_u32 s29, s7, s34
	s_add_i32 s28, s29, s28
	s_mul_i32 s9, s9, s34
	s_add_i32 s28, s28, s9
	s_mul_i32 s7, s7, s34
	s_mul_hi_u32 s29, s11, s7
	s_mul_i32 s33, s11, s7
	s_mul_i32 s36, s34, s28
	s_mul_hi_u32 s7, s34, s7
	s_mul_hi_u32 s35, s34, s28
	s_add_u32 s7, s7, s36
	s_addc_u32 s35, 0, s35
	s_add_u32 s7, s7, s33
	s_mul_hi_u32 s9, s11, s28
	s_addc_u32 s7, s35, s29
	s_addc_u32 s9, s9, 0
	s_mul_i32 s28, s11, s28
	s_add_u32 s7, s7, s28
	s_addc_u32 s9, 0, s9
	s_add_u32 s7, s34, s7
	s_cselect_b64 s[28:29], -1, 0
	s_cmp_lg_u64 s[28:29], 0
	s_addc_u32 s9, s11, s9
	s_add_u32 s28, s10, 0
	s_addc_u32 s29, 0, 0
	s_xor_b64 s[28:29], s[28:29], 0
	s_mul_i32 s33, s28, s9
	s_mul_hi_u32 s34, s28, s7
	s_mul_hi_u32 s11, s28, s9
	s_add_u32 s33, s34, s33
	s_addc_u32 s11, 0, s11
	s_mul_hi_u32 s35, s29, s7
	s_mul_i32 s7, s29, s7
	s_add_u32 s7, s33, s7
	s_mul_hi_u32 s34, s29, s9
	s_addc_u32 s7, s11, s35
	s_addc_u32 s11, s34, 0
	s_mul_i32 s9, s29, s9
	s_add_u32 s7, s7, s9
	s_addc_u32 s9, 0, s11
	s_mul_i32 s9, s22, s9
	s_mul_hi_u32 s11, s22, s7
	s_add_i32 s9, s11, s9
	s_mul_i32 s11, s23, s7
	s_add_i32 s9, s9, s11
	s_sub_i32 s11, s29, s9
	s_mul_i32 s7, s22, s7
	s_sub_u32 s7, s28, s7
	s_cselect_b64 s[34:35], -1, 0
	s_cmp_lg_u64 s[34:35], 0
	s_subb_u32 s11, s11, s23
	s_sub_u32 s28, s7, s22
	s_cselect_b64 s[36:37], -1, 0
	s_cmp_lg_u64 s[36:37], 0
	s_subb_u32 s33, s11, 0
	s_cmp_ge_u32 s33, s23
	s_cselect_b32 s38, -1, 0
	s_cmp_ge_u32 s28, s22
	s_cselect_b32 s39, -1, 0
	s_cmp_eq_u32 s33, s23
	s_cselect_b32 s38, s39, s38
	s_cmp_lg_u64 s[36:37], 0
	s_subb_u32 s11, s11, s23
	s_sub_u32 s39, s28, s22
	s_cselect_b64 s[36:37], -1, 0
	s_cmp_lg_u64 s[36:37], 0
	s_subb_u32 s11, s11, 0
	s_cmp_lg_u32 s38, 0
	s_cselect_b32 s28, s39, s28
	s_cselect_b32 s11, s11, s33
	s_cmp_lg_u64 s[34:35], 0
	s_subb_u32 s9, s29, s9
	s_cmp_ge_u32 s9, s23
	s_cselect_b32 s29, -1, 0
	s_cmp_ge_u32 s7, s22
	s_cselect_b32 s22, -1, 0
	s_cmp_eq_u32 s9, s23
	s_cselect_b32 s22, s22, s29
	s_cmp_lg_u32 s22, 0
	s_cselect_b32 s23, s11, s9
	s_cselect_b32 s22, s28, s7
	s_xor_b64 s[22:23], s[22:23], 0
	s_sub_u32 s22, s22, 0
	s_subb_u32 s23, s23, 0
	s_cbranch_execnz .LBB12_6
.LBB12_5:
	v_cvt_f32_u32_e32 v1, s6
	s_sub_i32 s7, 0, s6
	s_mov_b32 s23, 0
	v_rcp_iflag_f32_e32 v1, v1
	v_mul_f32_e32 v1, 0x4f7ffffe, v1
	v_cvt_u32_f32_e32 v1, v1
	v_readfirstlane_b32 s9, v1
	s_mul_i32 s7, s7, s9
	s_mul_hi_u32 s7, s9, s7
	s_add_i32 s9, s9, s7
	s_mul_hi_u32 s7, s10, s9
	s_mul_i32 s7, s7, s6
	s_sub_i32 s7, s10, s7
	s_sub_i32 s9, s7, s6
	s_cmp_ge_u32 s7, s6
	s_cselect_b32 s7, s9, s7
	s_sub_i32 s9, s7, s6
	s_cmp_ge_u32 s7, s6
	s_cselect_b32 s22, s9, s7
.LBB12_6:
	s_load_dwordx2 s[28:29], s[4:5], 0x30
	s_load_dwordx2 s[34:35], s[4:5], 0xa0
	s_waitcnt lgkmcnt(0)
	v_cmp_le_f32_e64 s[6:7], s15, 0
	s_and_b64 vcc, exec, s[6:7]
	v_mov_b32_e32 v5, 1.0
	s_cbranch_vccnz .LBB12_8
; %bb.7:
	s_load_dword s9, s[4:5], 0x28
	s_load_dwordx2 s[6:7], s[4:5], 0x98
	s_add_i32 s11, s26, 1
	s_waitcnt lgkmcnt(0)
	s_sub_i32 s12, s26, s9
	v_mov_b32_e32 v2, s6
	s_lshl_b32 s6, s12, 1
	s_or_b32 s12, s6, 1
	s_cmp_lt_u32 s26, s9
	s_cselect_b64 vcc, -1, 0
	v_mov_b32_e32 v1, s7
	s_and_b64 s[6:7], vcc, exec
	s_cselect_b32 s6, s11, s12
	v_cndmask_b32_e32 v1, v1, v2, vcc
	v_cvt_f32_i32_e32 v2, s6
	v_cmp_neq_f32_e32 vcc, 1.0, v1
	s_mov_b32 s6, 0x3f2aaaab
	s_movk_i32 s9, 0x204
	v_cndmask_b32_e32 v2, 1.0, v2, vcc
	v_cmp_neq_f32_e32 vcc, 0, v2
	v_cndmask_b32_e32 v1, 1.0, v1, vcc
	v_frexp_mant_f32_e64 v3, |v1|
	v_cmp_gt_f32_e32 vcc, s6, v3
	v_cndmask_b32_e64 v4, 1.0, 2.0, vcc
	v_mul_f32_e32 v3, v3, v4
	v_add_f32_e32 v4, 1.0, v3
	v_rcp_f32_e32 v5, v4
	v_add_f32_e32 v6, -1.0, v3
	v_add_f32_e32 v7, -1.0, v4
	v_sub_f32_e32 v3, v3, v7
	v_mul_f32_e32 v7, v6, v5
	v_mul_f32_e32 v8, v4, v7
	v_fma_f32 v4, v7, v4, -v8
	v_fmac_f32_e32 v4, v7, v3
	v_add_f32_e32 v3, v8, v4
	v_sub_f32_e32 v9, v6, v3
	v_sub_f32_e32 v8, v3, v8
	;; [unrolled: 1-line block ×5, first 2 shown]
	v_add_f32_e32 v3, v4, v3
	v_add_f32_e32 v3, v9, v3
	v_mul_f32_e32 v3, v5, v3
	v_add_f32_e32 v5, v7, v3
	v_sub_f32_e32 v4, v5, v7
	v_sub_f32_e32 v6, v3, v4
	v_mul_f32_e32 v3, v5, v5
	v_fma_f32 v4, v5, v5, -v3
	v_add_f32_e32 v7, v6, v6
	v_fmac_f32_e32 v4, v5, v7
	v_add_f32_e32 v7, v3, v4
	v_mov_b32_e32 v8, 0x3e91f4c4
	v_sub_f32_e32 v3, v7, v3
	v_fmac_f32_e32 v8, 0x3e76c4e1, v7
	v_mov_b32_e32 v9, 0x3ecccdef
	v_sub_f32_e32 v3, v4, v3
	v_mul_f32_e32 v4, v5, v7
	v_fmac_f32_e32 v9, v7, v8
	v_fma_f32 v8, v7, v5, -v4
	v_fmac_f32_e32 v8, v7, v6
	v_fmac_f32_e32 v8, v3, v5
	v_add_f32_e32 v10, v4, v8
	v_sub_f32_e32 v4, v10, v4
	v_sub_f32_e32 v8, v8, v4
	v_mul_f32_e32 v4, v7, v9
	v_fma_f32 v7, v7, v9, -v4
	v_fmac_f32_e32 v7, v3, v9
	v_add_f32_e32 v9, v4, v7
	v_sub_f32_e32 v3, v9, v4
	v_sub_f32_e32 v7, v7, v3
	v_cvt_f64_f32_e64 v[3:4], |v1|
	v_add_f32_e32 v11, 0x3f2aaaaa, v9
	v_add_f32_e32 v12, 0xbf2aaaaa, v11
	v_add_f32_e32 v7, 0x31739010, v7
	v_frexp_exp_i32_f64_e32 v3, v[3:4]
	v_sub_f32_e32 v9, v9, v12
	v_add_f32_e32 v4, v7, v9
	v_add_f32_e32 v7, v11, v4
	v_sub_f32_e32 v9, v11, v7
	v_add_f32_e32 v4, v4, v9
	v_mul_f32_e32 v9, v10, v7
	v_fma_f32 v11, v10, v7, -v9
	v_subbrev_co_u32_e32 v3, vcc, 0, v3, vcc
	v_cvt_f32_i32_e32 v3, v3
	v_fmac_f32_e32 v11, v10, v4
	s_mov_b32 s6, 0x3f317218
	v_fmac_f32_e32 v11, v8, v7
	v_mul_f32_e32 v4, 0x3f317218, v3
	v_fma_f32 v7, v3, s6, -v4
	v_fmac_f32_e32 v7, 0xb102e308, v3
	v_ldexp_f32 v3, v6, 1
	v_add_f32_e32 v6, v4, v7
	v_sub_f32_e32 v4, v6, v4
	v_ldexp_f32 v5, v5, 1
	v_sub_f32_e32 v4, v7, v4
	v_add_f32_e32 v7, v9, v11
	v_sub_f32_e32 v8, v7, v9
	v_add_f32_e32 v9, v5, v7
	v_sub_f32_e32 v8, v11, v8
	v_sub_f32_e32 v5, v9, v5
	;; [unrolled: 1-line block ×3, first 2 shown]
	v_add_f32_e32 v3, v3, v8
	v_add_f32_e32 v3, v3, v5
	;; [unrolled: 1-line block ×3, first 2 shown]
	v_sub_f32_e32 v7, v5, v9
	v_sub_f32_e32 v3, v3, v7
	v_add_f32_e32 v7, v6, v5
	v_sub_f32_e32 v8, v7, v6
	v_sub_f32_e32 v9, v7, v8
	;; [unrolled: 1-line block ×4, first 2 shown]
	v_add_f32_e32 v5, v5, v6
	v_add_f32_e32 v6, v4, v3
	v_sub_f32_e32 v8, v6, v4
	v_sub_f32_e32 v9, v6, v8
	v_sub_f32_e32 v4, v4, v9
	v_sub_f32_e32 v3, v3, v8
	v_add_f32_e32 v3, v3, v4
	v_add_f32_e32 v4, v6, v5
	;; [unrolled: 1-line block ×3, first 2 shown]
	v_sub_f32_e32 v6, v5, v7
	v_sub_f32_e32 v4, v4, v6
	v_add_f32_e32 v3, v3, v4
	v_add_f32_e32 v4, v5, v3
	v_sub_f32_e32 v5, v4, v5
	v_sub_f32_e32 v3, v3, v5
	v_mul_f32_e32 v5, v2, v4
	v_fma_f32 v4, v2, v4, -v5
	v_fmac_f32_e32 v4, v2, v3
	v_add_f32_e32 v3, v5, v4
	v_cmp_class_f32_e64 vcc, v5, s9
	v_sub_f32_e32 v6, v3, v5
	v_cndmask_b32_e32 v3, v3, v5, vcc
	s_mov_b32 s7, 0x42b17218
	v_mov_b32_e32 v5, 0x37000000
	v_cmp_eq_f32_e32 vcc, s7, v3
	v_cndmask_b32_e32 v5, 0, v5, vcc
	v_sub_f32_e32 v4, v4, v6
	v_sub_f32_e32 v6, v3, v5
	s_mov_b32 s11, 0x3fb8aa3b
	v_mul_f32_e32 v7, 0x3fb8aa3b, v6
	v_fma_f32 v8, v6, s11, -v7
	v_rndne_f32_e32 v9, v7
	v_fmac_f32_e32 v8, 0x32a5705f, v6
	v_sub_f32_e32 v7, v7, v9
	v_add_f32_e32 v7, v7, v8
	v_exp_f32_e32 v7, v7
	v_cvt_i32_f32_e32 v8, v9
	s_mov_b32 s6, 0x7f800000
	v_cmp_neq_f32_e64 vcc, |v3|, s6
	s_mov_b32 s6, 0xc2ce8ed0
	v_cndmask_b32_e32 v3, 0, v4, vcc
	v_ldexp_f32 v4, v7, v8
	v_cmp_ngt_f32_e32 vcc, s6, v6
	v_add_f32_e32 v3, v5, v3
	v_cndmask_b32_e32 v4, 0, v4, vcc
	v_mov_b32_e32 v5, 0x7f800000
	v_cmp_nlt_f32_e32 vcc, s7, v6
	v_cndmask_b32_e32 v4, v5, v4, vcc
	v_fma_f32 v3, v4, v3, v4
	v_cmp_class_f32_e64 vcc, v4, s9
	v_cndmask_b32_e32 v3, v3, v4, vcc
	v_trunc_f32_e32 v4, v2
	v_cmp_eq_f32_e32 vcc, v4, v2
	v_mul_f32_e32 v4, 0.5, v2
	v_trunc_f32_e32 v7, v4
	v_cmp_neq_f32_e64 s[6:7], v7, v4
	s_and_b64 s[6:7], vcc, s[6:7]
	v_cndmask_b32_e64 v4, 1.0, v1, s[6:7]
	s_brev_b32 s11, -2
	v_mov_b32_e32 v6, 0x7fc00000
	v_bfi_b32 v3, s11, v3, v4
	v_cndmask_b32_e32 v4, v6, v3, vcc
	v_cmp_gt_f32_e32 vcc, 0, v1
	v_cndmask_b32_e32 v3, v3, v4, vcc
	v_cmp_eq_f32_e32 vcc, 0, v1
	v_cmp_gt_f32_e64 s[12:13], 0, v2
	s_xor_b64 s[12:13], s[12:13], vcc
	v_cmp_class_f32_e64 s[36:37], v1, s9
	v_cndmask_b32_e64 v2, v5, 0, s[12:13]
	v_cndmask_b32_e64 v4, 0, v1, s[6:7]
	v_bfi_b32 v2, s11, v2, v4
	s_or_b64 vcc, vcc, s[36:37]
	v_cndmask_b32_e32 v2, v3, v2, vcc
	v_cmp_o_f32_e32 vcc, v1, v1
	v_cndmask_b32_e32 v5, v6, v2, vcc
.LBB12_8:
	s_load_dwordx8 s[36:43], s[4:5], 0x0
	s_load_dword s7, s[24:25], 0xc
	s_waitcnt lgkmcnt(0)
	s_cmp_lg_u64 s[40:41], 0
	s_cselect_b64 s[46:47], -1, 0
	s_cmp_eq_u64 s[40:41], 0
	s_cbranch_scc1 .LBB12_12
; %bb.9:
	s_lshl_b64 s[12:13], s[26:27], 2
	s_add_u32 s12, s40, s12
	s_addc_u32 s13, s41, s13
	s_load_dword s6, s[12:13], 0x0
	s_branch .LBB12_13
.LBB12_10:
                                        ; implicit-def: $sgpr30_sgpr31
	s_branch .LBB12_2
.LBB12_11:
                                        ; implicit-def: $sgpr22_sgpr23
	s_branch .LBB12_5
.LBB12_12:
	s_mov_b32 s6, 0xff800000
.LBB12_13:
	s_mul_i32 s9, s35, s10
	s_add_i32 s9, s9, s26
	s_mul_i32 s52, s9, s34
	s_add_i32 s52, s52, s8
	s_bfe_i64 s[34:35], s[28:29], 0x200000
	s_and_b32 s29, 0xffff, s7
	s_cmp_gt_i32 s28, 0
	s_mov_b32 s15, 0
	s_cselect_b64 s[44:45], -1, 0
	s_cmp_lt_i32 s28, 1
	s_waitcnt lgkmcnt(0)
	v_mov_b32_e32 v6, s6
	s_cbranch_scc1 .LBB12_21
; %bb.14:
	s_mul_i32 s7, s17, s8
	s_mul_hi_u32 s9, s16, s8
	s_add_i32 s9, s9, s7
	s_mul_i32 s7, s16, s8
	s_mul_i32 s8, s30, s19
	s_mul_hi_u32 s10, s30, s18
	s_add_i32 s8, s10, s8
	s_mul_i32 s10, s31, s18
	s_add_i32 s8, s8, s10
	s_mul_i32 s10, s30, s18
	s_add_u32 s7, s10, s7
	s_addc_u32 s9, s8, s9
	s_mul_i32 s8, s22, s21
	s_mul_hi_u32 s10, s22, s20
	s_add_i32 s8, s10, s8
	s_mul_i32 s10, s23, s20
	s_add_i32 s10, s8, s10
	s_mul_i32 s8, s22, s20
	s_add_u32 s8, s7, s8
	s_addc_u32 s9, s9, s10
	s_lshr_b64 s[8:9], s[8:9], 1
	s_cmp_lg_u64 s[38:39], 0
	s_cselect_b64 s[12:13], -1, 0
	v_cndmask_b32_e64 v8, 0, 1, s[12:13]
	s_and_b64 s[12:13], s[12:13], exec
	s_mul_hi_i32 s13, s52, s34
	s_mul_i32 s12, s52, s34
	s_cselect_b32 s9, s9, 0
	s_cselect_b32 s8, s8, 0
	s_lshl_b32 s16, s29, 2
	s_lshl_b64 s[12:13], s[12:13], 2
	v_lshlrev_b32_e32 v1, 2, v0
	s_add_u32 s7, s36, s12
	v_add_u32_e32 v2, 0, v1
	s_addc_u32 s12, s37, s13
	s_lshl_b64 s[8:9], s[8:9], 1
	v_add_u32_e32 v7, 0x80, v2
	v_mov_b32_e32 v2, s12
	v_add_co_u32_e32 v1, vcc, s7, v1
	s_add_u32 s7, s38, s8
	v_addc_co_u32_e32 v2, vcc, 0, v2, vcc
	v_lshlrev_b32_e32 v3, 1, v0
	s_addc_u32 s8, s39, s9
	v_mov_b32_e32 v4, s8
	v_add_co_u32_e32 v3, vcc, s7, v3
	s_mov_b64 s[10:11], 0
	v_addc_co_u32_e32 v4, vcc, 0, v4, vcc
	s_lshl_b32 s17, s29, 1
	v_mov_b32_e32 v6, s6
	v_cmp_ne_u32_e64 s[6:7], 1, v8
	s_branch .LBB12_17
.LBB12_15:                              ;   in Loop: Header=BB12_17 Depth=1
	s_waitcnt vmcnt(0)
	v_fmac_f32_e32 v9, s14, v8
	v_max_f32_e32 v6, v6, v6
	v_max_f32_e32 v6, v6, v9
	ds_write_b32 v7, v9
.LBB12_16:                              ;   in Loop: Header=BB12_17 Depth=1
	s_or_b64 exec, exec, s[12:13]
	s_add_i32 s15, s15, s29
	s_cmp_ge_i32 s15, s28
	s_cselect_b64 s[12:13], -1, 0
	s_xor_b64 s[8:9], s[8:9], -1
	v_add_co_u32_e32 v1, vcc, s16, v1
	s_or_b64 s[8:9], s[8:9], s[12:13]
	v_addc_co_u32_e32 v2, vcc, 0, v2, vcc
	s_and_b64 s[8:9], exec, s[8:9]
	v_add_co_u32_e32 v3, vcc, s17, v3
	v_add_u32_e32 v7, s16, v7
	s_or_b64 s[10:11], s[8:9], s[10:11]
	v_addc_co_u32_e32 v4, vcc, 0, v4, vcc
	s_andn2_b64 exec, exec, s[10:11]
	s_cbranch_execz .LBB12_20
.LBB12_17:                              ; =>This Inner Loop Header: Depth=1
	v_add_u32_e32 v8, s15, v0
	v_cmp_gt_i32_e64 s[8:9], s28, v8
	s_and_saveexec_b64 s[12:13], s[8:9]
	s_cbranch_execz .LBB12_16
; %bb.18:                               ;   in Loop: Header=BB12_17 Depth=1
	global_load_dword v8, v[1:2], off
	s_and_b64 vcc, exec, s[6:7]
	v_mov_b32_e32 v9, 0
	s_cbranch_vccnz .LBB12_15
; %bb.19:                               ;   in Loop: Header=BB12_17 Depth=1
	global_load_ushort v9, v[3:4], off
	s_waitcnt vmcnt(0)
	v_cvt_f32_f16_e32 v9, v9
	v_mul_f32_e32 v9, v5, v9
	s_branch .LBB12_15
.LBB12_20:
	s_or_b64 exec, exec, s[10:11]
.LBB12_21:
	v_mbcnt_lo_u32_b32 v1, -1, 0
	v_mbcnt_hi_u32_b32 v1, -1, v1
	v_and_b32_e32 v2, 0x60, v1
	v_add_u32_e32 v2, 32, v2
	v_xor_b32_e32 v3, 16, v1
	v_cmp_lt_i32_e32 vcc, v3, v2
	v_cndmask_b32_e32 v3, v1, v3, vcc
	v_lshlrev_b32_e32 v41, 2, v3
	ds_bpermute_b32 v3, v41, v6
	v_xor_b32_e32 v5, 8, v1
	v_max_f32_e32 v4, v6, v6
	v_cmp_lt_i32_e32 vcc, v5, v2
	s_cmp_gt_u32 s29, 32
	s_waitcnt lgkmcnt(0)
	v_max_f32_e32 v3, v3, v3
	v_max_f32_e32 v3, v4, v3
	v_cndmask_b32_e32 v4, v1, v5, vcc
	v_lshlrev_b32_e32 v42, 2, v4
	ds_bpermute_b32 v4, v42, v3
	v_xor_b32_e32 v5, 4, v1
	v_cmp_lt_i32_e32 vcc, v5, v2
	s_mov_b64 s[48:49], -1
	s_cselect_b64 s[36:37], -1, 0
	s_waitcnt lgkmcnt(0)
	v_max_f32_e32 v4, v4, v4
	v_max_f32_e32 v3, v3, v4
	v_cndmask_b32_e32 v4, v1, v5, vcc
	v_lshlrev_b32_e32 v43, 2, v4
	ds_bpermute_b32 v4, v43, v3
	v_xor_b32_e32 v5, 2, v1
	v_cmp_lt_i32_e32 vcc, v5, v2
	s_cmp_lt_u32 s29, 33
	s_mov_b64 s[38:39], 0
	s_waitcnt lgkmcnt(0)
	v_max_f32_e32 v4, v4, v4
	v_max_f32_e32 v3, v3, v4
	v_cndmask_b32_e32 v4, v1, v5, vcc
	v_lshlrev_b32_e32 v44, 2, v4
	ds_bpermute_b32 v4, v44, v3
	v_xor_b32_e32 v5, 1, v1
	v_cmp_lt_i32_e32 vcc, v5, v2
	v_cndmask_b32_e32 v1, v1, v5, vcc
	v_lshlrev_b32_e32 v45, 2, v1
	s_waitcnt lgkmcnt(0)
	v_max_f32_e32 v4, v4, v4
	v_max_f32_e32 v3, v3, v4
	ds_bpermute_b32 v1, v45, v3
	s_waitcnt lgkmcnt(0)
	v_max_f32_e32 v1, v1, v1
	v_max_f32_e32 v46, v3, v1
	s_cbranch_scc1 .LBB12_30
; %bb.22:
	s_cmpk_gt_u32 s29, 0x400
	s_cselect_b64 s[6:7], -1, 0
	s_and_b32 s8, s29, 31
	s_cmp_lg_u32 s8, 0
	s_cselect_b64 s[8:9], -1, 0
	s_or_b64 s[8:9], s[6:7], s[8:9]
	s_mov_b64 s[6:7], -1
	s_mov_b64 s[48:49], 0
	s_and_b64 vcc, exec, s[8:9]
	s_mov_b64 s[8:9], 0
	s_cbranch_vccnz .LBB12_33
; %bb.23:
	s_andn2_b64 vcc, exec, s[6:7]
	s_cbranch_vccz .LBB12_34
.LBB12_24:
	s_and_b64 vcc, exec, s[48:49]
	s_cbranch_vccz .LBB12_31
.LBB12_25:
	s_andn2_b64 vcc, exec, s[44:45]
	s_cbranch_vccnz .LBB12_39
; %bb.26:
	v_lshl_add_u32 v1, v0, 2, 0
	s_mov_b32 s14, 0
	v_add_u32_e32 v2, 0x80, v1
	s_lshl_b32 s15, s29, 2
	v_mov_b32_e32 v1, 0
	s_mov_b64 s[10:11], 0
	s_mov_b32 s16, 0x3fb8aa3b
	s_mov_b32 s17, 0xc2ce8ed0
	;; [unrolled: 1-line block ×3, first 2 shown]
	v_mov_b32_e32 v3, 0x7f800000
	s_branch .LBB12_28
.LBB12_27:                              ;   in Loop: Header=BB12_28 Depth=1
	s_or_b64 exec, exec, s[12:13]
	s_add_i32 s14, s14, s29
	s_cmp_ge_i32 s14, s28
	s_cselect_b64 s[6:7], -1, 0
	s_xor_b64 s[12:13], vcc, -1
	s_or_b64 s[6:7], s[12:13], s[6:7]
	s_and_b64 s[6:7], exec, s[6:7]
	s_or_b64 s[10:11], s[6:7], s[10:11]
	v_add_u32_e32 v2, s15, v2
	s_andn2_b64 exec, exec, s[10:11]
	s_cbranch_execz .LBB12_32
.LBB12_28:                              ; =>This Inner Loop Header: Depth=1
	v_add_u32_e32 v4, s14, v0
	v_cmp_gt_i32_e32 vcc, s28, v4
	s_and_saveexec_b64 s[12:13], vcc
	s_cbranch_execz .LBB12_27
; %bb.29:                               ;   in Loop: Header=BB12_28 Depth=1
	ds_read_b32 v4, v2
	s_waitcnt lgkmcnt(0)
	v_sub_f32_e32 v4, v4, v46
	v_mul_f32_e32 v5, 0x3fb8aa3b, v4
	v_fma_f32 v6, v4, s16, -v5
	v_rndne_f32_e32 v7, v5
	v_fmac_f32_e32 v6, 0x32a5705f, v4
	v_sub_f32_e32 v5, v5, v7
	v_add_f32_e32 v5, v5, v6
	v_cvt_i32_f32_e32 v7, v7
	v_exp_f32_e32 v5, v5
	v_cmp_ngt_f32_e64 s[6:7], s17, v4
	v_ldexp_f32 v5, v5, v7
	v_cndmask_b32_e64 v5, 0, v5, s[6:7]
	v_cmp_nlt_f32_e64 s[6:7], s18, v4
	v_cndmask_b32_e64 v4, v3, v5, s[6:7]
	v_add_f32_e32 v1, v1, v4
	ds_write_b32 v2, v4
	s_branch .LBB12_27
.LBB12_30:
	s_mov_b64 s[8:9], 0
	s_and_b64 vcc, exec, s[48:49]
	s_cbranch_vccnz .LBB12_25
.LBB12_31:
                                        ; implicit-def: $vgpr3
	s_mov_b64 s[6:7], 0
	s_and_b64 vcc, exec, s[8:9]
	s_cbranch_vccnz .LBB12_44
	s_branch .LBB12_45
.LBB12_32:
	s_or_b64 exec, exec, s[10:11]
	s_branch .LBB12_40
.LBB12_33:
	s_add_u32 s8, s4, 0xa0
	s_addc_u32 s9, s5, 0
	s_getpc_b64 s[6:7]
	s_add_u32 s6, s6, .str.2@rel32@lo+4
	s_addc_u32 s7, s7, .str.2@rel32@hi+12
	s_getpc_b64 s[10:11]
	s_add_u32 s10, s10, .str.3@rel32@lo+4
	s_addc_u32 s11, s11, .str.3@rel32@hi+12
	s_getpc_b64 s[12:13]
	s_add_u32 s12, s12, __PRETTY_FUNCTION__._ZL12block_reduceIL19block_reduce_method0ELj0EfET1_S1_PS1_@rel32@lo+4
	s_addc_u32 s13, s13, __PRETTY_FUNCTION__._ZL12block_reduceIL19block_reduce_method0ELj0EfET1_S1_PS1_@rel32@hi+12
	s_getpc_b64 s[14:15]
	s_add_u32 s14, s14, __assert_fail@rel32@lo+4
	s_addc_u32 s15, s15, __assert_fail@rel32@hi+12
	v_mov_b32_e32 v47, v0
	v_mov_b32_e32 v0, s6
	;; [unrolled: 1-line block ×8, first 2 shown]
	s_mov_b64 s[50:51], s[4:5]
	s_swappc_b64 s[30:31], s[14:15]
	v_mov_b32_e32 v0, v47
	s_mov_b64 s[4:5], s[50:51]
	s_mov_b64 s[8:9], -1
	s_cbranch_execnz .LBB12_24
.LBB12_34:
	v_and_b32_e32 v1, 31, v0
	v_cmp_eq_u32_e32 vcc, 0, v1
	s_and_saveexec_b64 s[6:7], vcc
; %bb.35:
	v_lshrrev_b32_e32 v2, 3, v0
	v_add_u32_e32 v2, 0, v2
	ds_write_b32 v2, v46
; %bb.36:
	s_or_b64 exec, exec, s[6:7]
	s_lshr_b32 s6, s29, 5
	v_cmp_gt_u32_e32 vcc, s6, v1
	v_mov_b32_e32 v2, 0xff800000
	s_waitcnt lgkmcnt(0)
	s_barrier
	s_and_saveexec_b64 s[6:7], vcc
; %bb.37:
	v_lshl_add_u32 v1, v1, 2, 0
	ds_read_b32 v2, v1
; %bb.38:
	s_or_b64 exec, exec, s[6:7]
	s_waitcnt lgkmcnt(0)
	ds_bpermute_b32 v1, v41, v2
	v_max_f32_e32 v2, v2, v2
	s_waitcnt lgkmcnt(0)
	v_max_f32_e32 v1, v1, v1
	v_max_f32_e32 v1, v2, v1
	ds_bpermute_b32 v2, v42, v1
	s_waitcnt lgkmcnt(0)
	v_max_f32_e32 v2, v2, v2
	v_max_f32_e32 v1, v1, v2
	ds_bpermute_b32 v2, v43, v1
	;; [unrolled: 4-line block ×4, first 2 shown]
	s_waitcnt lgkmcnt(0)
	v_max_f32_e32 v2, v2, v2
	v_max_f32_e32 v46, v1, v2
	s_cbranch_execnz .LBB12_25
	s_branch .LBB12_31
.LBB12_39:
	v_mov_b32_e32 v1, 0
.LBB12_40:
	ds_bpermute_b32 v2, v41, v1
	s_andn2_b64 vcc, exec, s[36:37]
	s_waitcnt lgkmcnt(0)
	v_add_f32_e32 v1, v1, v2
	ds_bpermute_b32 v2, v42, v1
	s_waitcnt lgkmcnt(0)
	v_add_f32_e32 v1, v1, v2
	ds_bpermute_b32 v2, v43, v1
	;; [unrolled: 3-line block ×4, first 2 shown]
	s_cbranch_vccnz .LBB12_43
; %bb.41:
	s_cmpk_gt_u32 s29, 0x400
	s_cselect_b64 s[6:7], -1, 0
	s_and_b32 s10, s29, 31
	s_cmp_lg_u32 s10, 0
	s_cselect_b64 s[10:11], -1, 0
	s_or_b64 s[10:11], s[6:7], s[10:11]
	s_mov_b64 s[6:7], -1
	s_and_b64 vcc, exec, s[10:11]
	s_cbranch_vccz .LBB12_60
; %bb.42:
	s_add_u32 s8, s4, 0xa0
	s_addc_u32 s9, s5, 0
	s_getpc_b64 s[4:5]
	s_add_u32 s4, s4, .str.2@rel32@lo+4
	s_addc_u32 s5, s5, .str.2@rel32@hi+12
	s_getpc_b64 s[6:7]
	s_add_u32 s6, s6, .str.3@rel32@lo+4
	s_addc_u32 s7, s7, .str.3@rel32@hi+12
	s_getpc_b64 s[10:11]
	s_add_u32 s10, s10, __PRETTY_FUNCTION__._ZL12block_reduceIL19block_reduce_method1ELj0EfET1_S1_PS1_@rel32@lo+4
	s_addc_u32 s11, s11, __PRETTY_FUNCTION__._ZL12block_reduceIL19block_reduce_method1ELj0EfET1_S1_PS1_@rel32@hi+12
	s_getpc_b64 s[12:13]
	s_add_u32 s12, s12, __assert_fail@rel32@lo+4
	s_addc_u32 s13, s13, __assert_fail@rel32@hi+12
	v_mov_b32_e32 v54, v0
	v_mov_b32_e32 v0, s4
	;; [unrolled: 1-line block ×8, first 2 shown]
	s_swappc_b64 s[30:31], s[12:13]
	v_mov_b32_e32 v0, v54
	s_mov_b64 s[6:7], 0
	s_mov_b64 s[38:39], 0
	v_add_f32_e32 v3, v47, v53
	s_cbranch_execnz .LBB12_44
	s_branch .LBB12_45
.LBB12_43:
	s_mov_b64 s[6:7], 0
	s_mov_b64 s[38:39], -1
	s_waitcnt lgkmcnt(0)
	v_add_f32_e32 v3, v47, v53
	s_and_b64 vcc, exec, s[8:9]
	s_cbranch_vccz .LBB12_45
.LBB12_44:
	; divergent unreachable
.LBB12_45:
	s_andn2_b64 vcc, exec, s[6:7]
	s_cbranch_vccz .LBB12_47
; %bb.46:
	s_and_b64 vcc, exec, s[38:39]
	s_cbranch_vccnz .LBB12_52
	s_branch .LBB12_59
.LBB12_47:
	v_and_b32_e32 v1, 31, v0
	v_cmp_eq_u32_e32 vcc, 0, v1
	s_and_saveexec_b64 s[4:5], vcc
; %bb.48:
	v_lshrrev_b32_e32 v2, 3, v0
	v_add_u32_e32 v2, 0, v2
	ds_write_b32 v2, v3
; %bb.49:
	s_or_b64 exec, exec, s[4:5]
	s_lshr_b32 s4, s29, 5
	v_cmp_gt_u32_e32 vcc, s4, v1
	v_mov_b32_e32 v2, 0
	s_waitcnt lgkmcnt(0)
	s_barrier
	s_and_saveexec_b64 s[4:5], vcc
; %bb.50:
	v_lshl_add_u32 v1, v1, 2, 0
	ds_read_b32 v2, v1
; %bb.51:
	s_or_b64 exec, exec, s[4:5]
	s_waitcnt lgkmcnt(0)
	ds_bpermute_b32 v1, v41, v2
	s_waitcnt lgkmcnt(0)
	v_add_f32_e32 v1, v2, v1
	ds_bpermute_b32 v2, v42, v1
	s_waitcnt lgkmcnt(0)
	v_add_f32_e32 v1, v1, v2
	ds_bpermute_b32 v2, v43, v1
	s_waitcnt lgkmcnt(0)
	v_add_f32_e32 v1, v1, v2
	ds_bpermute_b32 v2, v44, v1
	s_waitcnt lgkmcnt(0)
	v_add_f32_e32 v1, v1, v2
	ds_bpermute_b32 v2, v45, v1
	s_waitcnt lgkmcnt(0)
	v_add_f32_e32 v3, v1, v2
	s_cbranch_execz .LBB12_59
.LBB12_52:
	s_andn2_b64 vcc, exec, s[46:47]
	s_cbranch_vccnz .LBB12_54
; %bb.53:
	s_lshl_b64 s[4:5], s[26:27], 2
	s_add_u32 s4, s40, s4
	s_addc_u32 s5, s41, s5
	v_mov_b32_e32 v1, 0
	global_load_dword v1, v1, s[4:5]
	s_mov_b32 s4, 0x3fb8aa3b
	s_mov_b32 s5, 0x42b17218
	s_waitcnt vmcnt(0)
	v_sub_f32_e32 v1, v1, v46
	v_mul_f32_e32 v2, 0x3fb8aa3b, v1
	v_fma_f32 v4, v1, s4, -v2
	v_rndne_f32_e32 v5, v2
	v_fmac_f32_e32 v4, 0x32a5705f, v1
	v_sub_f32_e32 v2, v2, v5
	v_add_f32_e32 v2, v2, v4
	v_cvt_i32_f32_e32 v5, v5
	v_exp_f32_e32 v2, v2
	s_mov_b32 s4, 0xc2ce8ed0
	v_cmp_ngt_f32_e32 vcc, s4, v1
	v_mov_b32_e32 v4, 0x7f800000
	v_ldexp_f32 v2, v2, v5
	v_cndmask_b32_e32 v2, 0, v2, vcc
	v_cmp_nlt_f32_e32 vcc, s5, v1
	v_cndmask_b32_e32 v1, v4, v2, vcc
	v_add_f32_e32 v3, v3, v1
.LBB12_54:
	s_andn2_b64 vcc, exec, s[44:45]
	s_cbranch_vccnz .LBB12_59
; %bb.55:
	v_div_scale_f32 v1, s[4:5], v3, v3, 1.0
	v_div_scale_f32 v2, vcc, 1.0, v3, 1.0
	s_mul_hi_i32 s5, s52, s34
	s_mul_i32 s4, s52, s34
	s_lshl_b32 s11, s29, 2
	s_lshl_b64 s[4:5], s[4:5], 2
	s_add_u32 s4, s42, s4
	s_addc_u32 s5, s43, s5
	s_mov_b32 s10, 0
                                        ; implicit-def: $sgpr6_sgpr7
	v_rcp_f32_e32 v4, v1
	v_fma_f32 v5, -v1, v4, 1.0
	v_fmac_f32_e32 v4, v5, v4
	v_mul_f32_e32 v5, v2, v4
	v_fma_f32 v6, -v1, v5, v2
	v_fmac_f32_e32 v5, v6, v4
	v_fma_f32 v1, -v1, v5, v2
	v_div_fmas_f32 v5, v1, v4, v5
	v_lshlrev_b32_e32 v1, 2, v0
	v_add_u32_e32 v2, 0, v1
	v_add_u32_e32 v4, 0x80, v2
	v_mov_b32_e32 v2, s5
	v_add_co_u32_e32 v1, vcc, s4, v1
	v_addc_co_u32_e32 v2, vcc, 0, v2, vcc
	s_mov_b64 s[4:5], 0
	v_div_fixup_f32 v3, v5, v3, 1.0
	s_branch .LBB12_57
.LBB12_56:                              ;   in Loop: Header=BB12_57 Depth=1
	s_or_b64 exec, exec, s[8:9]
	s_and_b64 s[8:9], exec, s[6:7]
	s_or_b64 s[4:5], s[8:9], s[4:5]
	s_andn2_b64 exec, exec, s[4:5]
	s_cbranch_execz .LBB12_59
.LBB12_57:                              ; =>This Inner Loop Header: Depth=1
	v_add_u32_e32 v5, s10, v0
	v_cmp_gt_i32_e32 vcc, s28, v5
	s_or_b64 s[6:7], s[6:7], exec
	s_and_saveexec_b64 s[8:9], vcc
	s_cbranch_execz .LBB12_56
; %bb.58:                               ;   in Loop: Header=BB12_57 Depth=1
	ds_read_b32 v5, v4
	s_add_i32 s10, s10, s29
	s_cmp_ge_i32 s10, s28
	s_cselect_b64 s[12:13], -1, 0
	s_andn2_b64 s[6:7], s[6:7], exec
	s_waitcnt lgkmcnt(0)
	v_mul_f32_e32 v5, v3, v5
	global_store_dword v[1:2], v5, off
	v_add_co_u32_e32 v1, vcc, s11, v1
	s_and_b64 s[12:13], s[12:13], exec
	v_add_u32_e32 v4, s11, v4
	v_addc_co_u32_e32 v2, vcc, 0, v2, vcc
	s_or_b64 s[6:7], s[6:7], s[12:13]
	s_branch .LBB12_56
.LBB12_59:
	s_endpgm
.LBB12_60:
	s_mov_b64 s[38:39], 0
	s_waitcnt lgkmcnt(0)
	v_add_f32_e32 v3, v47, v53
	s_and_b64 vcc, exec, s[8:9]
	s_cbranch_vccnz .LBB12_44
	s_branch .LBB12_45
	.section	.rodata,"a",@progbits
	.p2align	6, 0x0
	.amdhsa_kernel _ZL12soft_max_f32ILb1ELi0ELi0E6__halfEvPKfPKT2_S2_Pf15soft_max_params
		.amdhsa_group_segment_fixed_size 0
		.amdhsa_private_segment_fixed_size 64
		.amdhsa_kernarg_size 416
		.amdhsa_user_sgpr_count 8
		.amdhsa_user_sgpr_private_segment_buffer 1
		.amdhsa_user_sgpr_dispatch_ptr 0
		.amdhsa_user_sgpr_queue_ptr 0
		.amdhsa_user_sgpr_kernarg_segment_ptr 1
		.amdhsa_user_sgpr_dispatch_id 0
		.amdhsa_user_sgpr_flat_scratch_init 1
		.amdhsa_user_sgpr_private_segment_size 0
		.amdhsa_uses_dynamic_stack 0
		.amdhsa_system_sgpr_private_segment_wavefront_offset 1
		.amdhsa_system_sgpr_workgroup_id_x 1
		.amdhsa_system_sgpr_workgroup_id_y 1
		.amdhsa_system_sgpr_workgroup_id_z 1
		.amdhsa_system_sgpr_workgroup_info 0
		.amdhsa_system_vgpr_workitem_id 0
		.amdhsa_next_free_vgpr 55
		.amdhsa_next_free_sgpr 53
		.amdhsa_reserve_vcc 1
		.amdhsa_reserve_flat_scratch 1
		.amdhsa_float_round_mode_32 0
		.amdhsa_float_round_mode_16_64 0
		.amdhsa_float_denorm_mode_32 3
		.amdhsa_float_denorm_mode_16_64 3
		.amdhsa_dx10_clamp 1
		.amdhsa_ieee_mode 1
		.amdhsa_fp16_overflow 0
		.amdhsa_exception_fp_ieee_invalid_op 0
		.amdhsa_exception_fp_denorm_src 0
		.amdhsa_exception_fp_ieee_div_zero 0
		.amdhsa_exception_fp_ieee_overflow 0
		.amdhsa_exception_fp_ieee_underflow 0
		.amdhsa_exception_fp_ieee_inexact 0
		.amdhsa_exception_int_div_zero 0
	.end_amdhsa_kernel
	.section	.text._ZL12soft_max_f32ILb1ELi0ELi0E6__halfEvPKfPKT2_S2_Pf15soft_max_params,"axG",@progbits,_ZL12soft_max_f32ILb1ELi0ELi0E6__halfEvPKfPKT2_S2_Pf15soft_max_params,comdat
.Lfunc_end12:
	.size	_ZL12soft_max_f32ILb1ELi0ELi0E6__halfEvPKfPKT2_S2_Pf15soft_max_params, .Lfunc_end12-_ZL12soft_max_f32ILb1ELi0ELi0E6__halfEvPKfPKT2_S2_Pf15soft_max_params
                                        ; -- End function
	.set _ZL12soft_max_f32ILb1ELi0ELi0E6__halfEvPKfPKT2_S2_Pf15soft_max_params.num_vgpr, max(55, .L__assert_fail.num_vgpr)
	.set _ZL12soft_max_f32ILb1ELi0ELi0E6__halfEvPKfPKT2_S2_Pf15soft_max_params.num_agpr, max(0, .L__assert_fail.num_agpr)
	.set _ZL12soft_max_f32ILb1ELi0ELi0E6__halfEvPKfPKT2_S2_Pf15soft_max_params.numbered_sgpr, max(53, .L__assert_fail.numbered_sgpr)
	.set _ZL12soft_max_f32ILb1ELi0ELi0E6__halfEvPKfPKT2_S2_Pf15soft_max_params.num_named_barrier, max(0, .L__assert_fail.num_named_barrier)
	.set _ZL12soft_max_f32ILb1ELi0ELi0E6__halfEvPKfPKT2_S2_Pf15soft_max_params.private_seg_size, 0+max(.L__assert_fail.private_seg_size)
	.set _ZL12soft_max_f32ILb1ELi0ELi0E6__halfEvPKfPKT2_S2_Pf15soft_max_params.uses_vcc, or(1, .L__assert_fail.uses_vcc)
	.set _ZL12soft_max_f32ILb1ELi0ELi0E6__halfEvPKfPKT2_S2_Pf15soft_max_params.uses_flat_scratch, or(1, .L__assert_fail.uses_flat_scratch)
	.set _ZL12soft_max_f32ILb1ELi0ELi0E6__halfEvPKfPKT2_S2_Pf15soft_max_params.has_dyn_sized_stack, or(0, .L__assert_fail.has_dyn_sized_stack)
	.set _ZL12soft_max_f32ILb1ELi0ELi0E6__halfEvPKfPKT2_S2_Pf15soft_max_params.has_recursion, or(0, .L__assert_fail.has_recursion)
	.set _ZL12soft_max_f32ILb1ELi0ELi0E6__halfEvPKfPKT2_S2_Pf15soft_max_params.has_indirect_call, or(0, .L__assert_fail.has_indirect_call)
	.section	.AMDGPU.csdata,"",@progbits
; Kernel info:
; codeLenInByte = 4652
; TotalNumSgprs: 59
; NumVgprs: 55
; ScratchSize: 64
; MemoryBound: 0
; FloatMode: 240
; IeeeMode: 1
; LDSByteSize: 0 bytes/workgroup (compile time only)
; SGPRBlocks: 7
; VGPRBlocks: 13
; NumSGPRsForWavesPerEU: 59
; NumVGPRsForWavesPerEU: 55
; Occupancy: 4
; WaveLimiterHint : 1
; COMPUTE_PGM_RSRC2:SCRATCH_EN: 1
; COMPUTE_PGM_RSRC2:USER_SGPR: 8
; COMPUTE_PGM_RSRC2:TRAP_HANDLER: 0
; COMPUTE_PGM_RSRC2:TGID_X_EN: 1
; COMPUTE_PGM_RSRC2:TGID_Y_EN: 1
; COMPUTE_PGM_RSRC2:TGID_Z_EN: 1
; COMPUTE_PGM_RSRC2:TIDIG_COMP_CNT: 0
	.section	.text._ZL12soft_max_f32ILb0ELi0ELi0E6__halfEvPKfPKT2_S2_Pf15soft_max_params,"axG",@progbits,_ZL12soft_max_f32ILb0ELi0ELi0E6__halfEvPKfPKT2_S2_Pf15soft_max_params,comdat
	.globl	_ZL12soft_max_f32ILb0ELi0ELi0E6__halfEvPKfPKT2_S2_Pf15soft_max_params ; -- Begin function _ZL12soft_max_f32ILb0ELi0ELi0E6__halfEvPKfPKT2_S2_Pf15soft_max_params
	.p2align	8
	.type	_ZL12soft_max_f32ILb0ELi0ELi0E6__halfEvPKfPKT2_S2_Pf15soft_max_params,@function
_ZL12soft_max_f32ILb0ELi0ELi0E6__halfEvPKfPKT2_S2_Pf15soft_max_params: ; @_ZL12soft_max_f32ILb0ELi0ELi0E6__halfEvPKfPKT2_S2_Pf15soft_max_params
; %bb.0:
	s_add_u32 flat_scratch_lo, s6, s11
	s_addc_u32 flat_scratch_hi, s7, 0
	s_load_dwordx8 s[16:23], s[4:5], 0x68
	s_load_dwordx2 s[6:7], s[4:5], 0x88
	s_add_u32 s0, s0, s11
	s_addc_u32 s1, s1, 0
	s_mov_b32 s27, 0
	s_add_u32 s24, s4, 0xa0
	s_addc_u32 s25, s5, 0
	s_mov_b32 s12, s27
	s_waitcnt lgkmcnt(0)
	s_mov_b32 s13, s23
	s_mov_b32 s26, s9
	s_cmp_lg_u64 s[12:13], 0
	s_mov_b32 s32, 0
	s_cbranch_scc0 .LBB13_10
; %bb.1:
	s_ashr_i32 s12, s23, 31
	s_add_u32 s14, s22, s12
	s_mov_b32 s13, s12
	s_addc_u32 s15, s23, s12
	s_xor_b64 s[14:15], s[14:15], s[12:13]
	v_cvt_f32_u32_e32 v1, s14
	v_cvt_f32_u32_e32 v2, s15
	s_sub_u32 s9, 0, s14
	s_subb_u32 s11, 0, s15
	v_madmk_f32 v1, v2, 0x4f800000, v1
	v_rcp_f32_e32 v1, v1
	v_mul_f32_e32 v1, 0x5f7ffffc, v1
	v_mul_f32_e32 v2, 0x2f800000, v1
	v_trunc_f32_e32 v2, v2
	v_madmk_f32 v1, v2, 0xcf800000, v1
	v_cvt_u32_f32_e32 v2, v2
	v_cvt_u32_f32_e32 v1, v1
	v_readfirstlane_b32 s23, v2
	v_readfirstlane_b32 s28, v1
	s_mul_i32 s29, s9, s23
	s_mul_hi_u32 s31, s9, s28
	s_mul_i32 s30, s11, s28
	s_add_i32 s29, s31, s29
	s_add_i32 s29, s29, s30
	s_mul_i32 s33, s9, s28
	s_mul_i32 s31, s28, s29
	s_mul_hi_u32 s34, s28, s33
	s_mul_hi_u32 s30, s28, s29
	s_add_u32 s31, s34, s31
	s_addc_u32 s30, 0, s30
	s_mul_hi_u32 s35, s23, s33
	s_mul_i32 s33, s23, s33
	s_add_u32 s31, s31, s33
	s_mul_hi_u32 s34, s23, s29
	s_addc_u32 s30, s30, s35
	s_addc_u32 s31, s34, 0
	s_mul_i32 s29, s23, s29
	s_add_u32 s29, s30, s29
	s_addc_u32 s30, 0, s31
	s_add_u32 s31, s28, s29
	s_cselect_b64 s[28:29], -1, 0
	s_cmp_lg_u64 s[28:29], 0
	s_addc_u32 s23, s23, s30
	s_mul_i32 s28, s9, s23
	s_mul_hi_u32 s29, s9, s31
	s_add_i32 s28, s29, s28
	s_mul_i32 s11, s11, s31
	s_add_i32 s28, s28, s11
	s_mul_i32 s9, s9, s31
	s_mul_hi_u32 s29, s23, s9
	s_mul_i32 s30, s23, s9
	s_mul_i32 s34, s31, s28
	s_mul_hi_u32 s9, s31, s9
	s_mul_hi_u32 s33, s31, s28
	s_add_u32 s9, s9, s34
	s_addc_u32 s33, 0, s33
	s_add_u32 s9, s9, s30
	s_mul_hi_u32 s11, s23, s28
	s_addc_u32 s9, s33, s29
	s_addc_u32 s11, s11, 0
	s_mul_i32 s28, s23, s28
	s_add_u32 s9, s9, s28
	s_addc_u32 s11, 0, s11
	s_add_u32 s9, s31, s9
	s_cselect_b64 s[28:29], -1, 0
	s_cmp_lg_u64 s[28:29], 0
	s_addc_u32 s11, s23, s11
	s_add_u32 s28, s26, 0
	s_addc_u32 s29, 0, 0
	s_xor_b64 s[28:29], s[28:29], 0
	s_mul_i32 s30, s28, s11
	s_mul_hi_u32 s31, s28, s9
	s_mul_hi_u32 s23, s28, s11
	s_add_u32 s30, s31, s30
	s_addc_u32 s23, 0, s23
	s_mul_hi_u32 s33, s29, s9
	s_mul_i32 s9, s29, s9
	s_add_u32 s9, s30, s9
	s_mul_hi_u32 s31, s29, s11
	s_addc_u32 s9, s23, s33
	s_addc_u32 s23, s31, 0
	s_mul_i32 s11, s29, s11
	s_add_u32 s9, s9, s11
	s_addc_u32 s11, 0, s23
	s_mul_i32 s11, s14, s11
	s_mul_hi_u32 s23, s14, s9
	s_add_i32 s11, s23, s11
	s_mul_i32 s23, s15, s9
	s_add_i32 s11, s11, s23
	s_sub_i32 s23, s29, s11
	s_mul_i32 s9, s14, s9
	s_sub_u32 s9, s28, s9
	s_cselect_b64 s[30:31], -1, 0
	s_cmp_lg_u64 s[30:31], 0
	s_subb_u32 s23, s23, s15
	s_sub_u32 s28, s9, s14
	s_cselect_b64 s[34:35], -1, 0
	s_cmp_lg_u64 s[34:35], 0
	s_subb_u32 s33, s23, 0
	s_cmp_ge_u32 s33, s15
	s_cselect_b32 s36, -1, 0
	s_cmp_ge_u32 s28, s14
	s_cselect_b32 s37, -1, 0
	s_cmp_eq_u32 s33, s15
	s_cselect_b32 s36, s37, s36
	s_cmp_lg_u64 s[34:35], 0
	s_subb_u32 s23, s23, s15
	s_sub_u32 s37, s28, s14
	s_cselect_b64 s[34:35], -1, 0
	s_cmp_lg_u64 s[34:35], 0
	s_subb_u32 s23, s23, 0
	s_cmp_lg_u32 s36, 0
	s_cselect_b32 s28, s37, s28
	s_cselect_b32 s23, s23, s33
	s_cmp_lg_u64 s[30:31], 0
	s_subb_u32 s11, s29, s11
	s_cmp_ge_u32 s11, s15
	s_cselect_b32 s29, -1, 0
	s_cmp_ge_u32 s9, s14
	s_cselect_b32 s14, -1, 0
	s_cmp_eq_u32 s11, s15
	s_cselect_b32 s14, s14, s29
	s_cmp_lg_u32 s14, 0
	s_cselect_b32 s15, s23, s11
	s_cselect_b32 s14, s28, s9
	s_xor_b64 s[14:15], s[14:15], 0
	s_sub_u32 s30, s14, 0
	s_subb_u32 s31, s15, 0
	s_cbranch_execnz .LBB13_3
.LBB13_2:
	v_cvt_f32_u32_e32 v1, s22
	s_sub_i32 s9, 0, s22
	s_mov_b32 s31, 0
	v_rcp_iflag_f32_e32 v1, v1
	v_mul_f32_e32 v1, 0x4f7ffffe, v1
	v_cvt_u32_f32_e32 v1, v1
	v_readfirstlane_b32 s11, v1
	s_mul_i32 s9, s9, s11
	s_mul_hi_u32 s9, s11, s9
	s_add_i32 s11, s11, s9
	s_mul_hi_u32 s9, s26, s11
	s_mul_i32 s9, s9, s22
	s_sub_i32 s9, s26, s9
	s_sub_i32 s11, s9, s22
	s_cmp_ge_u32 s9, s22
	s_cselect_b32 s9, s11, s9
	s_sub_i32 s11, s9, s22
	s_cmp_ge_u32 s9, s22
	s_cselect_b32 s30, s11, s9
.LBB13_3:
	s_load_dwordx2 s[14:15], s[4:5], 0x90
	s_mov_b32 s12, 0
	s_mov_b32 s13, s7
	s_cmp_lg_u64 s[12:13], 0
	s_cbranch_scc0 .LBB13_11
; %bb.4:
	s_ashr_i32 s12, s7, 31
	s_add_u32 s22, s6, s12
	s_mov_b32 s13, s12
	s_addc_u32 s23, s7, s12
	s_xor_b64 s[22:23], s[22:23], s[12:13]
	v_cvt_f32_u32_e32 v1, s22
	v_cvt_f32_u32_e32 v2, s23
	s_sub_u32 s7, 0, s22
	s_subb_u32 s9, 0, s23
	v_madmk_f32 v1, v2, 0x4f800000, v1
	v_rcp_f32_e32 v1, v1
	v_mul_f32_e32 v1, 0x5f7ffffc, v1
	v_mul_f32_e32 v2, 0x2f800000, v1
	v_trunc_f32_e32 v2, v2
	v_madmk_f32 v1, v2, 0xcf800000, v1
	v_cvt_u32_f32_e32 v2, v2
	v_cvt_u32_f32_e32 v1, v1
	v_readfirstlane_b32 s11, v2
	v_readfirstlane_b32 s28, v1
	s_mul_i32 s29, s7, s11
	s_mul_hi_u32 s34, s7, s28
	s_mul_i32 s33, s9, s28
	s_add_i32 s29, s34, s29
	s_add_i32 s29, s29, s33
	s_mul_i32 s35, s7, s28
	s_mul_i32 s34, s28, s29
	s_mul_hi_u32 s36, s28, s35
	s_mul_hi_u32 s33, s28, s29
	s_add_u32 s34, s36, s34
	s_addc_u32 s33, 0, s33
	s_mul_hi_u32 s37, s11, s35
	s_mul_i32 s35, s11, s35
	s_add_u32 s34, s34, s35
	s_mul_hi_u32 s36, s11, s29
	s_addc_u32 s33, s33, s37
	s_addc_u32 s34, s36, 0
	s_mul_i32 s29, s11, s29
	s_add_u32 s29, s33, s29
	s_addc_u32 s33, 0, s34
	s_add_u32 s34, s28, s29
	s_cselect_b64 s[28:29], -1, 0
	s_cmp_lg_u64 s[28:29], 0
	s_addc_u32 s11, s11, s33
	s_mul_i32 s28, s7, s11
	s_mul_hi_u32 s29, s7, s34
	s_add_i32 s28, s29, s28
	s_mul_i32 s9, s9, s34
	s_add_i32 s28, s28, s9
	s_mul_i32 s7, s7, s34
	s_mul_hi_u32 s29, s11, s7
	s_mul_i32 s33, s11, s7
	s_mul_i32 s36, s34, s28
	s_mul_hi_u32 s7, s34, s7
	s_mul_hi_u32 s35, s34, s28
	s_add_u32 s7, s7, s36
	s_addc_u32 s35, 0, s35
	s_add_u32 s7, s7, s33
	s_mul_hi_u32 s9, s11, s28
	s_addc_u32 s7, s35, s29
	s_addc_u32 s9, s9, 0
	s_mul_i32 s28, s11, s28
	s_add_u32 s7, s7, s28
	s_addc_u32 s9, 0, s9
	s_add_u32 s7, s34, s7
	s_cselect_b64 s[28:29], -1, 0
	s_cmp_lg_u64 s[28:29], 0
	s_addc_u32 s9, s11, s9
	s_add_u32 s28, s10, 0
	s_addc_u32 s29, 0, 0
	s_xor_b64 s[28:29], s[28:29], 0
	s_mul_i32 s33, s28, s9
	s_mul_hi_u32 s34, s28, s7
	s_mul_hi_u32 s11, s28, s9
	s_add_u32 s33, s34, s33
	s_addc_u32 s11, 0, s11
	s_mul_hi_u32 s35, s29, s7
	s_mul_i32 s7, s29, s7
	s_add_u32 s7, s33, s7
	s_mul_hi_u32 s34, s29, s9
	s_addc_u32 s7, s11, s35
	s_addc_u32 s11, s34, 0
	s_mul_i32 s9, s29, s9
	s_add_u32 s7, s7, s9
	s_addc_u32 s9, 0, s11
	s_mul_i32 s9, s22, s9
	s_mul_hi_u32 s11, s22, s7
	s_add_i32 s9, s11, s9
	s_mul_i32 s11, s23, s7
	s_add_i32 s9, s9, s11
	s_sub_i32 s11, s29, s9
	s_mul_i32 s7, s22, s7
	s_sub_u32 s7, s28, s7
	s_cselect_b64 s[34:35], -1, 0
	s_cmp_lg_u64 s[34:35], 0
	s_subb_u32 s11, s11, s23
	s_sub_u32 s28, s7, s22
	s_cselect_b64 s[36:37], -1, 0
	s_cmp_lg_u64 s[36:37], 0
	s_subb_u32 s33, s11, 0
	s_cmp_ge_u32 s33, s23
	s_cselect_b32 s38, -1, 0
	s_cmp_ge_u32 s28, s22
	s_cselect_b32 s39, -1, 0
	s_cmp_eq_u32 s33, s23
	s_cselect_b32 s38, s39, s38
	s_cmp_lg_u64 s[36:37], 0
	s_subb_u32 s11, s11, s23
	s_sub_u32 s39, s28, s22
	s_cselect_b64 s[36:37], -1, 0
	s_cmp_lg_u64 s[36:37], 0
	s_subb_u32 s11, s11, 0
	s_cmp_lg_u32 s38, 0
	s_cselect_b32 s28, s39, s28
	s_cselect_b32 s11, s11, s33
	s_cmp_lg_u64 s[34:35], 0
	s_subb_u32 s9, s29, s9
	s_cmp_ge_u32 s9, s23
	s_cselect_b32 s29, -1, 0
	s_cmp_ge_u32 s7, s22
	s_cselect_b32 s22, -1, 0
	s_cmp_eq_u32 s9, s23
	s_cselect_b32 s22, s22, s29
	s_cmp_lg_u32 s22, 0
	s_cselect_b32 s23, s11, s9
	s_cselect_b32 s22, s28, s7
	s_xor_b64 s[22:23], s[22:23], 0
	s_sub_u32 s22, s22, 0
	s_subb_u32 s23, s23, 0
	s_cbranch_execnz .LBB13_6
.LBB13_5:
	v_cvt_f32_u32_e32 v1, s6
	s_sub_i32 s7, 0, s6
	s_mov_b32 s23, 0
	v_rcp_iflag_f32_e32 v1, v1
	v_mul_f32_e32 v1, 0x4f7ffffe, v1
	v_cvt_u32_f32_e32 v1, v1
	v_readfirstlane_b32 s9, v1
	s_mul_i32 s7, s7, s9
	s_mul_hi_u32 s7, s9, s7
	s_add_i32 s9, s9, s7
	s_mul_hi_u32 s7, s10, s9
	s_mul_i32 s7, s7, s6
	s_sub_i32 s7, s10, s7
	s_sub_i32 s9, s7, s6
	s_cmp_ge_u32 s7, s6
	s_cselect_b32 s7, s9, s7
	s_sub_i32 s9, s7, s6
	s_cmp_ge_u32 s7, s6
	s_cselect_b32 s22, s9, s7
.LBB13_6:
	s_load_dwordx2 s[28:29], s[4:5], 0x30
	s_load_dwordx2 s[34:35], s[4:5], 0xa0
	s_waitcnt lgkmcnt(0)
	v_cmp_le_f32_e64 s[6:7], s15, 0
	s_and_b64 vcc, exec, s[6:7]
	v_mov_b32_e32 v3, 1.0
	s_cbranch_vccnz .LBB13_8
; %bb.7:
	s_load_dword s9, s[4:5], 0x28
	s_load_dwordx2 s[6:7], s[4:5], 0x98
	s_add_i32 s11, s26, 1
	s_waitcnt lgkmcnt(0)
	s_sub_i32 s12, s26, s9
	v_mov_b32_e32 v2, s6
	s_lshl_b32 s6, s12, 1
	s_or_b32 s12, s6, 1
	s_cmp_lt_u32 s26, s9
	s_cselect_b64 vcc, -1, 0
	v_mov_b32_e32 v1, s7
	s_and_b64 s[6:7], vcc, exec
	s_cselect_b32 s6, s11, s12
	v_cndmask_b32_e32 v1, v1, v2, vcc
	v_cvt_f32_i32_e32 v2, s6
	v_cmp_neq_f32_e32 vcc, 1.0, v1
	s_mov_b32 s6, 0x3f2aaaab
	s_movk_i32 s9, 0x204
	v_cndmask_b32_e32 v2, 1.0, v2, vcc
	v_cmp_neq_f32_e32 vcc, 0, v2
	v_cndmask_b32_e32 v1, 1.0, v1, vcc
	v_frexp_mant_f32_e64 v3, |v1|
	v_cmp_gt_f32_e32 vcc, s6, v3
	v_cndmask_b32_e64 v4, 1.0, 2.0, vcc
	v_mul_f32_e32 v3, v3, v4
	v_add_f32_e32 v4, 1.0, v3
	v_rcp_f32_e32 v5, v4
	v_add_f32_e32 v6, -1.0, v3
	v_add_f32_e32 v7, -1.0, v4
	v_sub_f32_e32 v3, v3, v7
	v_mul_f32_e32 v7, v6, v5
	v_mul_f32_e32 v8, v4, v7
	v_fma_f32 v4, v7, v4, -v8
	v_fmac_f32_e32 v4, v7, v3
	v_add_f32_e32 v3, v8, v4
	v_sub_f32_e32 v9, v6, v3
	v_sub_f32_e32 v8, v3, v8
	;; [unrolled: 1-line block ×5, first 2 shown]
	v_add_f32_e32 v3, v4, v3
	v_add_f32_e32 v3, v9, v3
	v_mul_f32_e32 v3, v5, v3
	v_add_f32_e32 v5, v7, v3
	v_sub_f32_e32 v4, v5, v7
	v_sub_f32_e32 v6, v3, v4
	v_mul_f32_e32 v3, v5, v5
	v_fma_f32 v4, v5, v5, -v3
	v_add_f32_e32 v7, v6, v6
	v_fmac_f32_e32 v4, v5, v7
	v_add_f32_e32 v7, v3, v4
	v_mov_b32_e32 v8, 0x3e91f4c4
	v_sub_f32_e32 v3, v7, v3
	v_fmac_f32_e32 v8, 0x3e76c4e1, v7
	v_mov_b32_e32 v9, 0x3ecccdef
	v_sub_f32_e32 v3, v4, v3
	v_mul_f32_e32 v4, v5, v7
	v_fmac_f32_e32 v9, v7, v8
	v_fma_f32 v8, v7, v5, -v4
	v_fmac_f32_e32 v8, v7, v6
	v_fmac_f32_e32 v8, v3, v5
	v_add_f32_e32 v10, v4, v8
	v_sub_f32_e32 v4, v10, v4
	v_sub_f32_e32 v8, v8, v4
	v_mul_f32_e32 v4, v7, v9
	v_fma_f32 v7, v7, v9, -v4
	v_fmac_f32_e32 v7, v3, v9
	v_add_f32_e32 v9, v4, v7
	v_sub_f32_e32 v3, v9, v4
	v_sub_f32_e32 v7, v7, v3
	v_cvt_f64_f32_e64 v[3:4], |v1|
	v_add_f32_e32 v11, 0x3f2aaaaa, v9
	v_add_f32_e32 v12, 0xbf2aaaaa, v11
	;; [unrolled: 1-line block ×3, first 2 shown]
	v_frexp_exp_i32_f64_e32 v3, v[3:4]
	v_sub_f32_e32 v9, v9, v12
	v_add_f32_e32 v4, v7, v9
	v_add_f32_e32 v7, v11, v4
	v_sub_f32_e32 v9, v11, v7
	v_add_f32_e32 v4, v4, v9
	v_mul_f32_e32 v9, v10, v7
	v_fma_f32 v11, v10, v7, -v9
	v_subbrev_co_u32_e32 v3, vcc, 0, v3, vcc
	v_cvt_f32_i32_e32 v3, v3
	v_fmac_f32_e32 v11, v10, v4
	s_mov_b32 s6, 0x3f317218
	v_fmac_f32_e32 v11, v8, v7
	v_mul_f32_e32 v4, 0x3f317218, v3
	v_fma_f32 v7, v3, s6, -v4
	v_fmac_f32_e32 v7, 0xb102e308, v3
	v_ldexp_f32 v3, v6, 1
	v_add_f32_e32 v6, v4, v7
	v_sub_f32_e32 v4, v6, v4
	v_ldexp_f32 v5, v5, 1
	v_sub_f32_e32 v4, v7, v4
	v_add_f32_e32 v7, v9, v11
	v_sub_f32_e32 v8, v7, v9
	v_add_f32_e32 v9, v5, v7
	v_sub_f32_e32 v8, v11, v8
	v_sub_f32_e32 v5, v9, v5
	;; [unrolled: 1-line block ×3, first 2 shown]
	v_add_f32_e32 v3, v3, v8
	v_add_f32_e32 v3, v3, v5
	;; [unrolled: 1-line block ×3, first 2 shown]
	v_sub_f32_e32 v7, v5, v9
	v_sub_f32_e32 v3, v3, v7
	v_add_f32_e32 v7, v6, v5
	v_sub_f32_e32 v8, v7, v6
	v_sub_f32_e32 v9, v7, v8
	;; [unrolled: 1-line block ×4, first 2 shown]
	v_add_f32_e32 v5, v5, v6
	v_add_f32_e32 v6, v4, v3
	v_sub_f32_e32 v8, v6, v4
	v_sub_f32_e32 v9, v6, v8
	v_sub_f32_e32 v4, v4, v9
	v_sub_f32_e32 v3, v3, v8
	v_add_f32_e32 v3, v3, v4
	v_add_f32_e32 v4, v6, v5
	v_add_f32_e32 v5, v7, v4
	v_sub_f32_e32 v6, v5, v7
	v_sub_f32_e32 v4, v4, v6
	v_add_f32_e32 v3, v3, v4
	v_add_f32_e32 v4, v5, v3
	v_sub_f32_e32 v5, v4, v5
	v_sub_f32_e32 v3, v3, v5
	v_mul_f32_e32 v5, v2, v4
	v_fma_f32 v4, v2, v4, -v5
	v_fmac_f32_e32 v4, v2, v3
	v_add_f32_e32 v3, v5, v4
	v_cmp_class_f32_e64 vcc, v5, s9
	v_sub_f32_e32 v6, v3, v5
	v_cndmask_b32_e32 v3, v3, v5, vcc
	s_mov_b32 s7, 0x42b17218
	v_mov_b32_e32 v5, 0x37000000
	v_cmp_eq_f32_e32 vcc, s7, v3
	v_cndmask_b32_e32 v5, 0, v5, vcc
	v_sub_f32_e32 v4, v4, v6
	v_sub_f32_e32 v6, v3, v5
	s_mov_b32 s11, 0x3fb8aa3b
	v_mul_f32_e32 v7, 0x3fb8aa3b, v6
	v_fma_f32 v8, v6, s11, -v7
	v_rndne_f32_e32 v9, v7
	v_fmac_f32_e32 v8, 0x32a5705f, v6
	v_sub_f32_e32 v7, v7, v9
	v_add_f32_e32 v7, v7, v8
	v_exp_f32_e32 v7, v7
	v_cvt_i32_f32_e32 v8, v9
	s_mov_b32 s6, 0x7f800000
	v_cmp_neq_f32_e64 vcc, |v3|, s6
	s_mov_b32 s6, 0xc2ce8ed0
	v_cndmask_b32_e32 v3, 0, v4, vcc
	v_ldexp_f32 v4, v7, v8
	v_cmp_ngt_f32_e32 vcc, s6, v6
	v_add_f32_e32 v3, v5, v3
	v_cndmask_b32_e32 v4, 0, v4, vcc
	v_mov_b32_e32 v5, 0x7f800000
	v_cmp_nlt_f32_e32 vcc, s7, v6
	v_cndmask_b32_e32 v4, v5, v4, vcc
	v_fma_f32 v3, v4, v3, v4
	v_cmp_class_f32_e64 vcc, v4, s9
	v_cndmask_b32_e32 v3, v3, v4, vcc
	v_trunc_f32_e32 v4, v2
	v_cmp_eq_f32_e32 vcc, v4, v2
	v_mul_f32_e32 v4, 0.5, v2
	v_trunc_f32_e32 v7, v4
	v_cmp_neq_f32_e64 s[6:7], v7, v4
	s_and_b64 s[6:7], vcc, s[6:7]
	v_cndmask_b32_e64 v4, 1.0, v1, s[6:7]
	s_brev_b32 s11, -2
	v_mov_b32_e32 v6, 0x7fc00000
	v_bfi_b32 v3, s11, v3, v4
	v_cndmask_b32_e32 v4, v6, v3, vcc
	v_cmp_gt_f32_e32 vcc, 0, v1
	v_cndmask_b32_e32 v3, v3, v4, vcc
	v_cmp_eq_f32_e32 vcc, 0, v1
	v_cmp_gt_f32_e64 s[12:13], 0, v2
	s_xor_b64 s[12:13], s[12:13], vcc
	v_cmp_class_f32_e64 s[36:37], v1, s9
	v_cndmask_b32_e64 v2, v5, 0, s[12:13]
	v_cndmask_b32_e64 v4, 0, v1, s[6:7]
	v_bfi_b32 v2, s11, v2, v4
	s_or_b64 vcc, vcc, s[36:37]
	v_cndmask_b32_e32 v2, v3, v2, vcc
	v_cmp_o_f32_e32 vcc, v1, v1
	v_cndmask_b32_e32 v3, v6, v2, vcc
.LBB13_8:
	s_load_dwordx8 s[36:43], s[4:5], 0x0
	s_load_dword s7, s[24:25], 0xc
	s_waitcnt lgkmcnt(0)
	s_cmp_lg_u64 s[40:41], 0
	s_cselect_b64 s[46:47], -1, 0
	s_cmp_eq_u64 s[40:41], 0
	s_cbranch_scc1 .LBB13_12
; %bb.9:
	s_lshl_b64 s[12:13], s[26:27], 2
	s_add_u32 s12, s40, s12
	s_addc_u32 s13, s41, s13
	s_load_dword s6, s[12:13], 0x0
	s_branch .LBB13_13
.LBB13_10:
                                        ; implicit-def: $sgpr30_sgpr31
	s_branch .LBB13_2
.LBB13_11:
                                        ; implicit-def: $sgpr22_sgpr23
	s_branch .LBB13_5
.LBB13_12:
	s_mov_b32 s6, 0xff800000
.LBB13_13:
	s_mul_i32 s9, s35, s10
	s_add_i32 s9, s9, s26
	s_mul_i32 s52, s9, s34
	s_add_i32 s52, s52, s8
	s_bfe_i64 s[34:35], s[28:29], 0x200000
	s_and_b32 s29, 0xffff, s7
	s_cmp_gt_i32 s28, 0
	s_mov_b32 s15, 0
	s_cselect_b64 s[44:45], -1, 0
	s_cmp_lt_i32 s28, 1
	s_waitcnt lgkmcnt(0)
	v_mov_b32_e32 v4, s6
	s_cbranch_scc1 .LBB13_21
; %bb.14:
	s_mul_i32 s7, s17, s8
	s_mul_hi_u32 s9, s16, s8
	s_add_i32 s9, s9, s7
	s_mul_i32 s7, s16, s8
	s_mul_i32 s8, s30, s19
	s_mul_hi_u32 s10, s30, s18
	s_add_i32 s8, s10, s8
	s_mul_i32 s10, s31, s18
	s_add_i32 s8, s8, s10
	s_mul_i32 s10, s30, s18
	s_add_u32 s7, s10, s7
	s_addc_u32 s9, s8, s9
	s_mul_i32 s8, s22, s21
	s_mul_hi_u32 s10, s22, s20
	s_add_i32 s8, s10, s8
	s_mul_i32 s10, s23, s20
	s_add_i32 s10, s8, s10
	s_mul_i32 s8, s22, s20
	s_add_u32 s8, s7, s8
	s_addc_u32 s9, s9, s10
	s_lshr_b64 s[8:9], s[8:9], 1
	s_cmp_lg_u64 s[38:39], 0
	s_cselect_b64 s[12:13], -1, 0
	v_cndmask_b32_e64 v7, 0, 1, s[12:13]
	s_and_b64 s[12:13], s[12:13], exec
	s_cselect_b32 s9, s9, 0
	s_cselect_b32 s8, s8, 0
	s_mul_hi_i32 s13, s52, s34
	s_mul_i32 s12, s52, s34
	s_lshl_b64 s[12:13], s[12:13], 2
	v_lshlrev_b32_e32 v1, 2, v0
	s_lshl_b32 s16, s29, 2
	s_lshl_b64 s[8:9], s[8:9], 1
	v_mov_b32_e32 v2, s13
	v_add_co_u32_e32 v5, vcc, s12, v1
	s_add_u32 s7, s38, s8
	v_addc_co_u32_e32 v6, vcc, 0, v2, vcc
	v_lshlrev_b32_e32 v1, 1, v0
	s_addc_u32 s8, s39, s9
	v_mov_b32_e32 v2, s8
	v_add_co_u32_e32 v1, vcc, s7, v1
	s_mov_b64 s[10:11], 0
	v_addc_co_u32_e32 v2, vcc, 0, v2, vcc
	s_lshl_b32 s17, s29, 1
	v_mov_b32_e32 v4, s6
	v_cmp_ne_u32_e64 s[6:7], 1, v7
	s_branch .LBB13_17
.LBB13_15:                              ;   in Loop: Header=BB13_17 Depth=1
	s_waitcnt vmcnt(0)
	v_fmac_f32_e32 v7, s14, v8
	v_mov_b32_e32 v9, s43
	v_add_co_u32_e32 v8, vcc, s42, v5
	v_max_f32_e32 v4, v4, v4
	v_addc_co_u32_e32 v9, vcc, v9, v6, vcc
	v_max_f32_e32 v4, v4, v7
	global_store_dword v[8:9], v7, off
.LBB13_16:                              ;   in Loop: Header=BB13_17 Depth=1
	s_or_b64 exec, exec, s[12:13]
	s_add_i32 s15, s15, s29
	s_cmp_ge_i32 s15, s28
	s_cselect_b64 s[12:13], -1, 0
	s_xor_b64 s[8:9], s[8:9], -1
	v_add_co_u32_e32 v5, vcc, s16, v5
	s_or_b64 s[8:9], s[8:9], s[12:13]
	v_addc_co_u32_e32 v6, vcc, 0, v6, vcc
	s_and_b64 s[8:9], exec, s[8:9]
	v_add_co_u32_e32 v1, vcc, s17, v1
	s_or_b64 s[10:11], s[8:9], s[10:11]
	v_addc_co_u32_e32 v2, vcc, 0, v2, vcc
	s_andn2_b64 exec, exec, s[10:11]
	s_cbranch_execz .LBB13_20
.LBB13_17:                              ; =>This Inner Loop Header: Depth=1
	v_add_u32_e32 v7, s15, v0
	v_cmp_gt_i32_e64 s[8:9], s28, v7
	s_and_saveexec_b64 s[12:13], s[8:9]
	s_cbranch_execz .LBB13_16
; %bb.18:                               ;   in Loop: Header=BB13_17 Depth=1
	v_mov_b32_e32 v8, s37
	v_add_co_u32_e32 v7, vcc, s36, v5
	v_addc_co_u32_e32 v8, vcc, v8, v6, vcc
	global_load_dword v8, v[7:8], off
	s_and_b64 vcc, exec, s[6:7]
	v_mov_b32_e32 v7, 0
	s_cbranch_vccnz .LBB13_15
; %bb.19:                               ;   in Loop: Header=BB13_17 Depth=1
	global_load_ushort v7, v[1:2], off
	s_waitcnt vmcnt(0)
	v_cvt_f32_f16_e32 v7, v7
	v_mul_f32_e32 v7, v3, v7
	s_branch .LBB13_15
.LBB13_20:
	s_or_b64 exec, exec, s[10:11]
.LBB13_21:
	v_mbcnt_lo_u32_b32 v1, -1, 0
	v_mbcnt_hi_u32_b32 v1, -1, v1
	v_and_b32_e32 v2, 0x60, v1
	v_add_u32_e32 v2, 32, v2
	v_xor_b32_e32 v3, 16, v1
	v_cmp_lt_i32_e32 vcc, v3, v2
	v_cndmask_b32_e32 v3, v1, v3, vcc
	v_lshlrev_b32_e32 v41, 2, v3
	ds_bpermute_b32 v3, v41, v4
	v_xor_b32_e32 v5, 8, v1
	v_max_f32_e32 v4, v4, v4
	v_cmp_lt_i32_e32 vcc, v5, v2
	s_cmp_gt_u32 s29, 32
	s_waitcnt lgkmcnt(0)
	v_max_f32_e32 v3, v3, v3
	v_max_f32_e32 v3, v4, v3
	v_cndmask_b32_e32 v4, v1, v5, vcc
	v_lshlrev_b32_e32 v42, 2, v4
	ds_bpermute_b32 v4, v42, v3
	v_xor_b32_e32 v5, 4, v1
	v_cmp_lt_i32_e32 vcc, v5, v2
	s_mov_b64 s[48:49], -1
	s_cselect_b64 s[36:37], -1, 0
	s_waitcnt lgkmcnt(0)
	v_max_f32_e32 v4, v4, v4
	v_max_f32_e32 v3, v3, v4
	v_cndmask_b32_e32 v4, v1, v5, vcc
	v_lshlrev_b32_e32 v43, 2, v4
	ds_bpermute_b32 v4, v43, v3
	v_xor_b32_e32 v5, 2, v1
	v_cmp_lt_i32_e32 vcc, v5, v2
	s_cmp_lt_u32 s29, 33
	s_mov_b64 s[38:39], 0
	s_waitcnt lgkmcnt(0)
	v_max_f32_e32 v4, v4, v4
	v_max_f32_e32 v3, v3, v4
	v_cndmask_b32_e32 v4, v1, v5, vcc
	v_lshlrev_b32_e32 v44, 2, v4
	ds_bpermute_b32 v4, v44, v3
	v_xor_b32_e32 v5, 1, v1
	v_cmp_lt_i32_e32 vcc, v5, v2
	v_cndmask_b32_e32 v1, v1, v5, vcc
	v_lshlrev_b32_e32 v45, 2, v1
	s_waitcnt lgkmcnt(0)
	v_max_f32_e32 v4, v4, v4
	v_max_f32_e32 v3, v3, v4
	ds_bpermute_b32 v1, v45, v3
	s_waitcnt lgkmcnt(0)
	v_max_f32_e32 v1, v1, v1
	v_max_f32_e32 v46, v3, v1
	s_cbranch_scc1 .LBB13_30
; %bb.22:
	s_cmpk_gt_u32 s29, 0x400
	s_cselect_b64 s[6:7], -1, 0
	s_and_b32 s8, s29, 31
	s_cmp_lg_u32 s8, 0
	s_cselect_b64 s[8:9], -1, 0
	s_or_b64 s[8:9], s[6:7], s[8:9]
	s_mov_b64 s[6:7], -1
	s_mov_b64 s[48:49], 0
	s_and_b64 vcc, exec, s[8:9]
	s_mov_b64 s[8:9], 0
	s_cbranch_vccnz .LBB13_33
; %bb.23:
	s_andn2_b64 vcc, exec, s[6:7]
	s_cbranch_vccz .LBB13_34
.LBB13_24:
	s_and_b64 vcc, exec, s[48:49]
	s_cbranch_vccz .LBB13_31
.LBB13_25:
	s_andn2_b64 vcc, exec, s[44:45]
	s_cbranch_vccnz .LBB13_39
; %bb.26:
	s_mul_hi_i32 s7, s52, s34
	s_mul_i32 s6, s52, s34
	s_lshl_b64 s[6:7], s[6:7], 2
	s_add_u32 s6, s42, s6
	v_lshlrev_b32_e32 v1, 2, v0
	s_addc_u32 s7, s43, s7
	v_mov_b32_e32 v2, s7
	v_add_co_u32_e32 v1, vcc, s6, v1
	s_mov_b32 s14, 0
	v_mov_b32_e32 v3, 0
	v_addc_co_u32_e32 v2, vcc, 0, v2, vcc
	s_lshl_b32 s15, s29, 2
	s_mov_b64 s[10:11], 0
	s_mov_b32 s16, 0x3fb8aa3b
	s_mov_b32 s17, 0xc2ce8ed0
	;; [unrolled: 1-line block ×3, first 2 shown]
	v_mov_b32_e32 v4, 0x7f800000
	s_branch .LBB13_28
.LBB13_27:                              ;   in Loop: Header=BB13_28 Depth=1
	s_or_b64 exec, exec, s[12:13]
	s_add_i32 s14, s14, s29
	s_cmp_ge_i32 s14, s28
	s_cselect_b64 s[6:7], -1, 0
	s_xor_b64 s[12:13], vcc, -1
	s_or_b64 s[6:7], s[12:13], s[6:7]
	s_and_b64 s[6:7], exec, s[6:7]
	v_add_co_u32_e32 v1, vcc, s15, v1
	s_or_b64 s[10:11], s[6:7], s[10:11]
	v_addc_co_u32_e32 v2, vcc, 0, v2, vcc
	s_andn2_b64 exec, exec, s[10:11]
	s_cbranch_execz .LBB13_32
.LBB13_28:                              ; =>This Inner Loop Header: Depth=1
	v_add_u32_e32 v5, s14, v0
	v_cmp_gt_i32_e32 vcc, s28, v5
	s_and_saveexec_b64 s[12:13], vcc
	s_cbranch_execz .LBB13_27
; %bb.29:                               ;   in Loop: Header=BB13_28 Depth=1
	global_load_dword v5, v[1:2], off
	s_waitcnt vmcnt(0)
	v_sub_f32_e32 v5, v5, v46
	v_mul_f32_e32 v6, 0x3fb8aa3b, v5
	v_fma_f32 v7, v5, s16, -v6
	v_rndne_f32_e32 v8, v6
	v_fmac_f32_e32 v7, 0x32a5705f, v5
	v_sub_f32_e32 v6, v6, v8
	v_add_f32_e32 v6, v6, v7
	v_cvt_i32_f32_e32 v8, v8
	v_exp_f32_e32 v6, v6
	v_cmp_ngt_f32_e64 s[6:7], s17, v5
	v_ldexp_f32 v6, v6, v8
	v_cndmask_b32_e64 v6, 0, v6, s[6:7]
	v_cmp_nlt_f32_e64 s[6:7], s18, v5
	v_cndmask_b32_e64 v5, v4, v6, s[6:7]
	v_add_f32_e32 v3, v3, v5
	global_store_dword v[1:2], v5, off
	s_branch .LBB13_27
.LBB13_30:
	s_mov_b64 s[8:9], 0
	s_and_b64 vcc, exec, s[48:49]
	s_cbranch_vccnz .LBB13_25
.LBB13_31:
                                        ; implicit-def: $vgpr3
	s_mov_b64 s[6:7], 0
	s_and_b64 vcc, exec, s[8:9]
	s_cbranch_vccnz .LBB13_44
	s_branch .LBB13_45
.LBB13_32:
	s_or_b64 exec, exec, s[10:11]
	s_branch .LBB13_40
.LBB13_33:
	s_add_u32 s8, s4, 0xa0
	s_addc_u32 s9, s5, 0
	s_getpc_b64 s[6:7]
	s_add_u32 s6, s6, .str.2@rel32@lo+4
	s_addc_u32 s7, s7, .str.2@rel32@hi+12
	s_getpc_b64 s[10:11]
	s_add_u32 s10, s10, .str.3@rel32@lo+4
	s_addc_u32 s11, s11, .str.3@rel32@hi+12
	s_getpc_b64 s[12:13]
	s_add_u32 s12, s12, __PRETTY_FUNCTION__._ZL12block_reduceIL19block_reduce_method0ELj0EfET1_S1_PS1_@rel32@lo+4
	s_addc_u32 s13, s13, __PRETTY_FUNCTION__._ZL12block_reduceIL19block_reduce_method0ELj0EfET1_S1_PS1_@rel32@hi+12
	s_getpc_b64 s[14:15]
	s_add_u32 s14, s14, __assert_fail@rel32@lo+4
	s_addc_u32 s15, s15, __assert_fail@rel32@hi+12
	v_mov_b32_e32 v47, v0
	v_mov_b32_e32 v0, s6
	;; [unrolled: 1-line block ×8, first 2 shown]
	s_mov_b64 s[50:51], s[4:5]
	s_swappc_b64 s[30:31], s[14:15]
	v_mov_b32_e32 v0, v47
	s_mov_b64 s[4:5], s[50:51]
	s_mov_b64 s[8:9], -1
	s_cbranch_execnz .LBB13_24
.LBB13_34:
	v_and_b32_e32 v1, 31, v0
	v_cmp_eq_u32_e32 vcc, 0, v1
	s_and_saveexec_b64 s[6:7], vcc
; %bb.35:
	v_lshrrev_b32_e32 v2, 3, v0
	v_add_u32_e32 v2, 0, v2
	ds_write_b32 v2, v46
; %bb.36:
	s_or_b64 exec, exec, s[6:7]
	s_lshr_b32 s6, s29, 5
	v_cmp_gt_u32_e32 vcc, s6, v1
	v_mov_b32_e32 v2, 0xff800000
	s_waitcnt vmcnt(0) lgkmcnt(0)
	s_barrier
	s_and_saveexec_b64 s[6:7], vcc
; %bb.37:
	v_lshl_add_u32 v1, v1, 2, 0
	ds_read_b32 v2, v1
; %bb.38:
	s_or_b64 exec, exec, s[6:7]
	s_waitcnt lgkmcnt(0)
	ds_bpermute_b32 v1, v41, v2
	v_max_f32_e32 v2, v2, v2
	s_waitcnt lgkmcnt(0)
	v_max_f32_e32 v1, v1, v1
	v_max_f32_e32 v1, v2, v1
	ds_bpermute_b32 v2, v42, v1
	s_waitcnt lgkmcnt(0)
	v_max_f32_e32 v2, v2, v2
	v_max_f32_e32 v1, v1, v2
	ds_bpermute_b32 v2, v43, v1
	;; [unrolled: 4-line block ×4, first 2 shown]
	s_waitcnt lgkmcnt(0)
	v_max_f32_e32 v2, v2, v2
	v_max_f32_e32 v46, v1, v2
	s_cbranch_execnz .LBB13_25
	s_branch .LBB13_31
.LBB13_39:
	v_mov_b32_e32 v3, 0
.LBB13_40:
	ds_bpermute_b32 v1, v41, v3
	s_andn2_b64 vcc, exec, s[36:37]
	s_waitcnt lgkmcnt(0)
	v_add_f32_e32 v1, v3, v1
	ds_bpermute_b32 v2, v42, v1
	s_waitcnt lgkmcnt(0)
	v_add_f32_e32 v1, v1, v2
	ds_bpermute_b32 v2, v43, v1
	;; [unrolled: 3-line block ×4, first 2 shown]
	s_cbranch_vccnz .LBB13_43
; %bb.41:
	s_cmpk_gt_u32 s29, 0x400
	s_cselect_b64 s[6:7], -1, 0
	s_and_b32 s10, s29, 31
	s_cmp_lg_u32 s10, 0
	s_cselect_b64 s[10:11], -1, 0
	s_or_b64 s[10:11], s[6:7], s[10:11]
	s_mov_b64 s[6:7], -1
	s_and_b64 vcc, exec, s[10:11]
	s_cbranch_vccz .LBB13_60
; %bb.42:
	s_add_u32 s8, s4, 0xa0
	s_addc_u32 s9, s5, 0
	s_getpc_b64 s[4:5]
	s_add_u32 s4, s4, .str.2@rel32@lo+4
	s_addc_u32 s5, s5, .str.2@rel32@hi+12
	s_getpc_b64 s[6:7]
	s_add_u32 s6, s6, .str.3@rel32@lo+4
	s_addc_u32 s7, s7, .str.3@rel32@hi+12
	s_getpc_b64 s[10:11]
	s_add_u32 s10, s10, __PRETTY_FUNCTION__._ZL12block_reduceIL19block_reduce_method1ELj0EfET1_S1_PS1_@rel32@lo+4
	s_addc_u32 s11, s11, __PRETTY_FUNCTION__._ZL12block_reduceIL19block_reduce_method1ELj0EfET1_S1_PS1_@rel32@hi+12
	s_getpc_b64 s[12:13]
	s_add_u32 s12, s12, __assert_fail@rel32@lo+4
	s_addc_u32 s13, s13, __assert_fail@rel32@hi+12
	v_mov_b32_e32 v54, v0
	v_mov_b32_e32 v0, s4
	;; [unrolled: 1-line block ×8, first 2 shown]
	s_swappc_b64 s[30:31], s[12:13]
	v_mov_b32_e32 v0, v54
	s_mov_b64 s[6:7], 0
	s_mov_b64 s[38:39], 0
	v_add_f32_e32 v3, v47, v53
	s_cbranch_execnz .LBB13_44
	s_branch .LBB13_45
.LBB13_43:
	s_mov_b64 s[6:7], 0
	s_mov_b64 s[38:39], -1
	s_waitcnt lgkmcnt(0)
	v_add_f32_e32 v3, v47, v53
	s_and_b64 vcc, exec, s[8:9]
	s_cbranch_vccz .LBB13_45
.LBB13_44:
	; divergent unreachable
.LBB13_45:
	s_andn2_b64 vcc, exec, s[6:7]
	s_cbranch_vccz .LBB13_47
; %bb.46:
	s_and_b64 vcc, exec, s[38:39]
	s_cbranch_vccnz .LBB13_52
	s_branch .LBB13_59
.LBB13_47:
	v_and_b32_e32 v1, 31, v0
	v_cmp_eq_u32_e32 vcc, 0, v1
	s_and_saveexec_b64 s[4:5], vcc
; %bb.48:
	v_lshrrev_b32_e32 v2, 3, v0
	v_add_u32_e32 v2, 0, v2
	ds_write_b32 v2, v3
; %bb.49:
	s_or_b64 exec, exec, s[4:5]
	s_lshr_b32 s4, s29, 5
	v_cmp_gt_u32_e32 vcc, s4, v1
	v_mov_b32_e32 v2, 0
	s_waitcnt vmcnt(0) lgkmcnt(0)
	s_barrier
	s_and_saveexec_b64 s[4:5], vcc
; %bb.50:
	v_lshl_add_u32 v1, v1, 2, 0
	ds_read_b32 v2, v1
; %bb.51:
	s_or_b64 exec, exec, s[4:5]
	s_waitcnt lgkmcnt(0)
	ds_bpermute_b32 v1, v41, v2
	s_waitcnt lgkmcnt(0)
	v_add_f32_e32 v1, v2, v1
	ds_bpermute_b32 v2, v42, v1
	s_waitcnt lgkmcnt(0)
	v_add_f32_e32 v1, v1, v2
	;; [unrolled: 3-line block ×5, first 2 shown]
	s_cbranch_execz .LBB13_59
.LBB13_52:
	s_andn2_b64 vcc, exec, s[46:47]
	s_cbranch_vccnz .LBB13_54
; %bb.53:
	s_lshl_b64 s[4:5], s[26:27], 2
	s_add_u32 s4, s40, s4
	s_addc_u32 s5, s41, s5
	v_mov_b32_e32 v1, 0
	global_load_dword v1, v1, s[4:5]
	s_mov_b32 s4, 0x3fb8aa3b
	s_mov_b32 s5, 0x42b17218
	s_waitcnt vmcnt(0)
	v_sub_f32_e32 v1, v1, v46
	v_mul_f32_e32 v2, 0x3fb8aa3b, v1
	v_fma_f32 v4, v1, s4, -v2
	v_rndne_f32_e32 v5, v2
	v_fmac_f32_e32 v4, 0x32a5705f, v1
	v_sub_f32_e32 v2, v2, v5
	v_add_f32_e32 v2, v2, v4
	v_cvt_i32_f32_e32 v5, v5
	v_exp_f32_e32 v2, v2
	s_mov_b32 s4, 0xc2ce8ed0
	v_cmp_ngt_f32_e32 vcc, s4, v1
	v_mov_b32_e32 v4, 0x7f800000
	v_ldexp_f32 v2, v2, v5
	v_cndmask_b32_e32 v2, 0, v2, vcc
	v_cmp_nlt_f32_e32 vcc, s5, v1
	v_cndmask_b32_e32 v1, v4, v2, vcc
	v_add_f32_e32 v3, v3, v1
.LBB13_54:
	s_andn2_b64 vcc, exec, s[44:45]
	s_cbranch_vccnz .LBB13_59
; %bb.55:
	v_div_scale_f32 v1, s[4:5], v3, v3, 1.0
	v_div_scale_f32 v2, vcc, 1.0, v3, 1.0
	s_mul_hi_i32 s5, s52, s34
	s_mul_i32 s4, s52, s34
	s_lshl_b64 s[4:5], s[4:5], 2
	s_add_u32 s4, s42, s4
	s_addc_u32 s5, s43, s5
	s_mov_b32 s10, 0
	s_lshl_b32 s11, s29, 2
                                        ; implicit-def: $sgpr6_sgpr7
	v_rcp_f32_e32 v4, v1
	v_fma_f32 v5, -v1, v4, 1.0
	v_fmac_f32_e32 v4, v5, v4
	v_mul_f32_e32 v5, v2, v4
	v_fma_f32 v6, -v1, v5, v2
	v_fmac_f32_e32 v5, v6, v4
	v_fma_f32 v1, -v1, v5, v2
	v_div_fmas_f32 v4, v1, v4, v5
	v_lshlrev_b32_e32 v1, 2, v0
	v_mov_b32_e32 v2, s5
	v_add_co_u32_e32 v1, vcc, s4, v1
	v_addc_co_u32_e32 v2, vcc, 0, v2, vcc
	s_mov_b64 s[4:5], 0
	v_div_fixup_f32 v3, v4, v3, 1.0
	s_branch .LBB13_57
.LBB13_56:                              ;   in Loop: Header=BB13_57 Depth=1
	s_or_b64 exec, exec, s[8:9]
	s_and_b64 s[8:9], exec, s[6:7]
	s_or_b64 s[4:5], s[8:9], s[4:5]
	s_andn2_b64 exec, exec, s[4:5]
	s_cbranch_execz .LBB13_59
.LBB13_57:                              ; =>This Inner Loop Header: Depth=1
	v_add_u32_e32 v4, s10, v0
	v_cmp_gt_i32_e32 vcc, s28, v4
	s_or_b64 s[6:7], s[6:7], exec
	s_and_saveexec_b64 s[8:9], vcc
	s_cbranch_execz .LBB13_56
; %bb.58:                               ;   in Loop: Header=BB13_57 Depth=1
	global_load_dword v4, v[1:2], off
	s_add_i32 s10, s10, s29
	s_cmp_ge_i32 s10, s28
	s_cselect_b64 s[12:13], -1, 0
	s_andn2_b64 s[6:7], s[6:7], exec
	s_and_b64 s[12:13], s[12:13], exec
	s_or_b64 s[6:7], s[6:7], s[12:13]
	s_waitcnt vmcnt(0)
	v_mul_f32_e32 v4, v3, v4
	global_store_dword v[1:2], v4, off
	v_add_co_u32_e32 v1, vcc, s11, v1
	v_addc_co_u32_e32 v2, vcc, 0, v2, vcc
	s_branch .LBB13_56
.LBB13_59:
	s_endpgm
.LBB13_60:
	s_mov_b64 s[38:39], 0
	s_waitcnt lgkmcnt(0)
	v_add_f32_e32 v3, v47, v53
	s_and_b64 vcc, exec, s[8:9]
	s_cbranch_vccnz .LBB13_44
	s_branch .LBB13_45
	.section	.rodata,"a",@progbits
	.p2align	6, 0x0
	.amdhsa_kernel _ZL12soft_max_f32ILb0ELi0ELi0E6__halfEvPKfPKT2_S2_Pf15soft_max_params
		.amdhsa_group_segment_fixed_size 0
		.amdhsa_private_segment_fixed_size 64
		.amdhsa_kernarg_size 416
		.amdhsa_user_sgpr_count 8
		.amdhsa_user_sgpr_private_segment_buffer 1
		.amdhsa_user_sgpr_dispatch_ptr 0
		.amdhsa_user_sgpr_queue_ptr 0
		.amdhsa_user_sgpr_kernarg_segment_ptr 1
		.amdhsa_user_sgpr_dispatch_id 0
		.amdhsa_user_sgpr_flat_scratch_init 1
		.amdhsa_user_sgpr_private_segment_size 0
		.amdhsa_uses_dynamic_stack 0
		.amdhsa_system_sgpr_private_segment_wavefront_offset 1
		.amdhsa_system_sgpr_workgroup_id_x 1
		.amdhsa_system_sgpr_workgroup_id_y 1
		.amdhsa_system_sgpr_workgroup_id_z 1
		.amdhsa_system_sgpr_workgroup_info 0
		.amdhsa_system_vgpr_workitem_id 0
		.amdhsa_next_free_vgpr 55
		.amdhsa_next_free_sgpr 53
		.amdhsa_reserve_vcc 1
		.amdhsa_reserve_flat_scratch 1
		.amdhsa_float_round_mode_32 0
		.amdhsa_float_round_mode_16_64 0
		.amdhsa_float_denorm_mode_32 3
		.amdhsa_float_denorm_mode_16_64 3
		.amdhsa_dx10_clamp 1
		.amdhsa_ieee_mode 1
		.amdhsa_fp16_overflow 0
		.amdhsa_exception_fp_ieee_invalid_op 0
		.amdhsa_exception_fp_denorm_src 0
		.amdhsa_exception_fp_ieee_div_zero 0
		.amdhsa_exception_fp_ieee_overflow 0
		.amdhsa_exception_fp_ieee_underflow 0
		.amdhsa_exception_fp_ieee_inexact 0
		.amdhsa_exception_int_div_zero 0
	.end_amdhsa_kernel
	.section	.text._ZL12soft_max_f32ILb0ELi0ELi0E6__halfEvPKfPKT2_S2_Pf15soft_max_params,"axG",@progbits,_ZL12soft_max_f32ILb0ELi0ELi0E6__halfEvPKfPKT2_S2_Pf15soft_max_params,comdat
.Lfunc_end13:
	.size	_ZL12soft_max_f32ILb0ELi0ELi0E6__halfEvPKfPKT2_S2_Pf15soft_max_params, .Lfunc_end13-_ZL12soft_max_f32ILb0ELi0ELi0E6__halfEvPKfPKT2_S2_Pf15soft_max_params
                                        ; -- End function
	.set _ZL12soft_max_f32ILb0ELi0ELi0E6__halfEvPKfPKT2_S2_Pf15soft_max_params.num_vgpr, max(55, .L__assert_fail.num_vgpr)
	.set _ZL12soft_max_f32ILb0ELi0ELi0E6__halfEvPKfPKT2_S2_Pf15soft_max_params.num_agpr, max(0, .L__assert_fail.num_agpr)
	.set _ZL12soft_max_f32ILb0ELi0ELi0E6__halfEvPKfPKT2_S2_Pf15soft_max_params.numbered_sgpr, max(53, .L__assert_fail.numbered_sgpr)
	.set _ZL12soft_max_f32ILb0ELi0ELi0E6__halfEvPKfPKT2_S2_Pf15soft_max_params.num_named_barrier, max(0, .L__assert_fail.num_named_barrier)
	.set _ZL12soft_max_f32ILb0ELi0ELi0E6__halfEvPKfPKT2_S2_Pf15soft_max_params.private_seg_size, 0+max(.L__assert_fail.private_seg_size)
	.set _ZL12soft_max_f32ILb0ELi0ELi0E6__halfEvPKfPKT2_S2_Pf15soft_max_params.uses_vcc, or(1, .L__assert_fail.uses_vcc)
	.set _ZL12soft_max_f32ILb0ELi0ELi0E6__halfEvPKfPKT2_S2_Pf15soft_max_params.uses_flat_scratch, or(1, .L__assert_fail.uses_flat_scratch)
	.set _ZL12soft_max_f32ILb0ELi0ELi0E6__halfEvPKfPKT2_S2_Pf15soft_max_params.has_dyn_sized_stack, or(0, .L__assert_fail.has_dyn_sized_stack)
	.set _ZL12soft_max_f32ILb0ELi0ELi0E6__halfEvPKfPKT2_S2_Pf15soft_max_params.has_recursion, or(0, .L__assert_fail.has_recursion)
	.set _ZL12soft_max_f32ILb0ELi0ELi0E6__halfEvPKfPKT2_S2_Pf15soft_max_params.has_indirect_call, or(0, .L__assert_fail.has_indirect_call)
	.section	.AMDGPU.csdata,"",@progbits
; Kernel info:
; codeLenInByte = 4660
; TotalNumSgprs: 59
; NumVgprs: 55
; ScratchSize: 64
; MemoryBound: 0
; FloatMode: 240
; IeeeMode: 1
; LDSByteSize: 0 bytes/workgroup (compile time only)
; SGPRBlocks: 7
; VGPRBlocks: 13
; NumSGPRsForWavesPerEU: 59
; NumVGPRsForWavesPerEU: 55
; Occupancy: 4
; WaveLimiterHint : 1
; COMPUTE_PGM_RSRC2:SCRATCH_EN: 1
; COMPUTE_PGM_RSRC2:USER_SGPR: 8
; COMPUTE_PGM_RSRC2:TRAP_HANDLER: 0
; COMPUTE_PGM_RSRC2:TGID_X_EN: 1
; COMPUTE_PGM_RSRC2:TGID_Y_EN: 1
; COMPUTE_PGM_RSRC2:TGID_Z_EN: 1
; COMPUTE_PGM_RSRC2:TIDIG_COMP_CNT: 0
	.section	.text._ZL12soft_max_f32ILb1ELi4096ELi1024EfEvPKfPKT2_S1_Pf15soft_max_params,"axG",@progbits,_ZL12soft_max_f32ILb1ELi4096ELi1024EfEvPKfPKT2_S1_Pf15soft_max_params,comdat
	.globl	_ZL12soft_max_f32ILb1ELi4096ELi1024EfEvPKfPKT2_S1_Pf15soft_max_params ; -- Begin function _ZL12soft_max_f32ILb1ELi4096ELi1024EfEvPKfPKT2_S1_Pf15soft_max_params
	.p2align	8
	.type	_ZL12soft_max_f32ILb1ELi4096ELi1024EfEvPKfPKT2_S1_Pf15soft_max_params,@function
_ZL12soft_max_f32ILb1ELi4096ELi1024EfEvPKfPKT2_S1_Pf15soft_max_params: ; @_ZL12soft_max_f32ILb1ELi4096ELi1024EfEvPKfPKT2_S1_Pf15soft_max_params
; %bb.0:
	s_load_dwordx8 s[12:19], s[4:5], 0x68
	s_load_dwordx2 s[0:1], s[4:5], 0x88
	s_mov_b32 s11, 0
	s_mov_b32 s2, s11
	;; [unrolled: 1-line block ×3, first 2 shown]
	s_waitcnt lgkmcnt(0)
	s_mov_b32 s3, s19
	s_cmp_lg_u64 s[2:3], 0
	s_cbranch_scc0 .LBB14_10
; %bb.1:
	s_ashr_i32 s2, s19, 31
	s_add_u32 s20, s18, s2
	s_mov_b32 s3, s2
	s_addc_u32 s21, s19, s2
	s_xor_b64 s[20:21], s[20:21], s[2:3]
	v_cvt_f32_u32_e32 v1, s20
	v_cvt_f32_u32_e32 v2, s21
	s_sub_u32 s7, 0, s20
	s_subb_u32 s9, 0, s21
	v_madmk_f32 v1, v2, 0x4f800000, v1
	v_rcp_f32_e32 v1, v1
	v_mul_f32_e32 v1, 0x5f7ffffc, v1
	v_mul_f32_e32 v2, 0x2f800000, v1
	v_trunc_f32_e32 v2, v2
	v_madmk_f32 v1, v2, 0xcf800000, v1
	v_cvt_u32_f32_e32 v2, v2
	v_cvt_u32_f32_e32 v1, v1
	v_readfirstlane_b32 s19, v2
	v_readfirstlane_b32 s22, v1
	s_mul_i32 s23, s7, s19
	s_mul_hi_u32 s25, s7, s22
	s_mul_i32 s24, s9, s22
	s_add_i32 s23, s25, s23
	s_add_i32 s23, s23, s24
	s_mul_i32 s26, s7, s22
	s_mul_i32 s25, s22, s23
	s_mul_hi_u32 s27, s22, s26
	s_mul_hi_u32 s24, s22, s23
	s_add_u32 s25, s27, s25
	s_addc_u32 s24, 0, s24
	s_mul_hi_u32 s28, s19, s26
	s_mul_i32 s26, s19, s26
	s_add_u32 s25, s25, s26
	s_mul_hi_u32 s27, s19, s23
	s_addc_u32 s24, s24, s28
	s_addc_u32 s25, s27, 0
	s_mul_i32 s23, s19, s23
	s_add_u32 s23, s24, s23
	s_addc_u32 s24, 0, s25
	s_add_u32 s25, s22, s23
	s_cselect_b64 s[22:23], -1, 0
	s_cmp_lg_u64 s[22:23], 0
	s_addc_u32 s19, s19, s24
	s_mul_i32 s22, s7, s19
	s_mul_hi_u32 s23, s7, s25
	s_add_i32 s22, s23, s22
	s_mul_i32 s9, s9, s25
	s_add_i32 s22, s22, s9
	s_mul_i32 s7, s7, s25
	s_mul_hi_u32 s23, s19, s7
	s_mul_i32 s24, s19, s7
	s_mul_i32 s27, s25, s22
	s_mul_hi_u32 s7, s25, s7
	s_mul_hi_u32 s26, s25, s22
	s_add_u32 s7, s7, s27
	s_addc_u32 s26, 0, s26
	s_add_u32 s7, s7, s24
	s_mul_hi_u32 s9, s19, s22
	s_addc_u32 s7, s26, s23
	s_addc_u32 s9, s9, 0
	s_mul_i32 s22, s19, s22
	s_add_u32 s7, s7, s22
	s_addc_u32 s9, 0, s9
	s_add_u32 s7, s25, s7
	s_cselect_b64 s[22:23], -1, 0
	s_cmp_lg_u64 s[22:23], 0
	s_addc_u32 s9, s19, s9
	s_add_u32 s22, s10, 0
	s_addc_u32 s23, 0, 0
	s_xor_b64 s[22:23], s[22:23], 0
	s_mul_i32 s24, s22, s9
	s_mul_hi_u32 s25, s22, s7
	s_mul_hi_u32 s19, s22, s9
	s_add_u32 s24, s25, s24
	s_addc_u32 s19, 0, s19
	s_mul_hi_u32 s26, s23, s7
	s_mul_i32 s7, s23, s7
	s_add_u32 s7, s24, s7
	s_mul_hi_u32 s25, s23, s9
	s_addc_u32 s7, s19, s26
	s_addc_u32 s19, s25, 0
	s_mul_i32 s9, s23, s9
	s_add_u32 s7, s7, s9
	s_addc_u32 s9, 0, s19
	s_mul_i32 s9, s20, s9
	s_mul_hi_u32 s19, s20, s7
	s_add_i32 s9, s19, s9
	s_mul_i32 s19, s21, s7
	s_add_i32 s9, s9, s19
	s_sub_i32 s19, s23, s9
	s_mul_i32 s7, s20, s7
	s_sub_u32 s7, s22, s7
	s_cselect_b64 s[24:25], -1, 0
	s_cmp_lg_u64 s[24:25], 0
	s_subb_u32 s19, s19, s21
	s_sub_u32 s22, s7, s20
	s_cselect_b64 s[26:27], -1, 0
	s_cmp_lg_u64 s[26:27], 0
	s_subb_u32 s28, s19, 0
	s_cmp_ge_u32 s28, s21
	s_cselect_b32 s29, -1, 0
	s_cmp_ge_u32 s22, s20
	s_cselect_b32 s30, -1, 0
	s_cmp_eq_u32 s28, s21
	s_cselect_b32 s29, s30, s29
	s_cmp_lg_u64 s[26:27], 0
	s_subb_u32 s19, s19, s21
	s_sub_u32 s30, s22, s20
	s_cselect_b64 s[26:27], -1, 0
	s_cmp_lg_u64 s[26:27], 0
	s_subb_u32 s19, s19, 0
	s_cmp_lg_u32 s29, 0
	s_cselect_b32 s22, s30, s22
	s_cselect_b32 s19, s19, s28
	s_cmp_lg_u64 s[24:25], 0
	s_subb_u32 s9, s23, s9
	s_cmp_ge_u32 s9, s21
	s_cselect_b32 s23, -1, 0
	s_cmp_ge_u32 s7, s20
	s_cselect_b32 s20, -1, 0
	s_cmp_eq_u32 s9, s21
	s_cselect_b32 s20, s20, s23
	s_cmp_lg_u32 s20, 0
	s_cselect_b32 s21, s19, s9
	s_cselect_b32 s20, s22, s7
	s_xor_b64 s[20:21], s[20:21], 0
	s_sub_u32 s28, s20, 0
	s_subb_u32 s29, s21, 0
	s_cbranch_execnz .LBB14_3
.LBB14_2:
	v_cvt_f32_u32_e32 v1, s18
	s_sub_i32 s2, 0, s18
	s_mov_b32 s29, 0
	v_rcp_iflag_f32_e32 v1, v1
	v_mul_f32_e32 v1, 0x4f7ffffe, v1
	v_cvt_u32_f32_e32 v1, v1
	v_readfirstlane_b32 s3, v1
	s_mul_i32 s2, s2, s3
	s_mul_hi_u32 s2, s3, s2
	s_add_i32 s3, s3, s2
	s_mul_hi_u32 s2, s10, s3
	s_mul_i32 s2, s2, s18
	s_sub_i32 s2, s10, s2
	s_sub_i32 s3, s2, s18
	s_cmp_ge_u32 s2, s18
	s_cselect_b32 s2, s3, s2
	s_sub_i32 s3, s2, s18
	s_cmp_ge_u32 s2, s18
	s_cselect_b32 s28, s3, s2
.LBB14_3:
	s_load_dwordx2 s[18:19], s[4:5], 0x90
	s_mov_b32 s2, 0
	s_mov_b32 s3, s1
	s_cmp_lg_u64 s[2:3], 0
	s_cbranch_scc0 .LBB14_11
; %bb.4:
	s_ashr_i32 s2, s1, 31
	s_add_u32 s20, s0, s2
	s_mov_b32 s3, s2
	s_addc_u32 s21, s1, s2
	s_xor_b64 s[20:21], s[20:21], s[2:3]
	v_cvt_f32_u32_e32 v1, s20
	v_cvt_f32_u32_e32 v2, s21
	s_sub_u32 s1, 0, s20
	s_subb_u32 s7, 0, s21
	v_madmk_f32 v1, v2, 0x4f800000, v1
	v_rcp_f32_e32 v1, v1
	v_mul_f32_e32 v1, 0x5f7ffffc, v1
	v_mul_f32_e32 v2, 0x2f800000, v1
	v_trunc_f32_e32 v2, v2
	v_madmk_f32 v1, v2, 0xcf800000, v1
	v_cvt_u32_f32_e32 v2, v2
	v_cvt_u32_f32_e32 v1, v1
	v_readfirstlane_b32 s9, v2
	v_readfirstlane_b32 s22, v1
	s_mul_i32 s23, s1, s9
	s_mul_hi_u32 s25, s1, s22
	s_mul_i32 s24, s7, s22
	s_add_i32 s23, s25, s23
	s_add_i32 s23, s23, s24
	s_mul_i32 s26, s1, s22
	s_mul_i32 s25, s22, s23
	s_mul_hi_u32 s27, s22, s26
	s_mul_hi_u32 s24, s22, s23
	s_add_u32 s25, s27, s25
	s_addc_u32 s24, 0, s24
	s_mul_hi_u32 s30, s9, s26
	s_mul_i32 s26, s9, s26
	s_add_u32 s25, s25, s26
	s_mul_hi_u32 s27, s9, s23
	s_addc_u32 s24, s24, s30
	s_addc_u32 s25, s27, 0
	s_mul_i32 s23, s9, s23
	s_add_u32 s23, s24, s23
	s_addc_u32 s24, 0, s25
	s_add_u32 s25, s22, s23
	s_cselect_b64 s[22:23], -1, 0
	s_cmp_lg_u64 s[22:23], 0
	s_addc_u32 s9, s9, s24
	s_mul_i32 s22, s1, s9
	s_mul_hi_u32 s23, s1, s25
	s_add_i32 s22, s23, s22
	s_mul_i32 s7, s7, s25
	s_add_i32 s22, s22, s7
	s_mul_i32 s1, s1, s25
	s_mul_hi_u32 s23, s9, s1
	s_mul_i32 s24, s9, s1
	s_mul_i32 s27, s25, s22
	s_mul_hi_u32 s1, s25, s1
	s_mul_hi_u32 s26, s25, s22
	s_add_u32 s1, s1, s27
	s_addc_u32 s26, 0, s26
	s_add_u32 s1, s1, s24
	s_mul_hi_u32 s7, s9, s22
	s_addc_u32 s1, s26, s23
	s_addc_u32 s7, s7, 0
	s_mul_i32 s22, s9, s22
	s_add_u32 s1, s1, s22
	s_addc_u32 s7, 0, s7
	s_add_u32 s1, s25, s1
	s_cselect_b64 s[22:23], -1, 0
	s_cmp_lg_u64 s[22:23], 0
	s_addc_u32 s7, s9, s7
	s_add_u32 s22, s8, 0
	s_addc_u32 s23, 0, 0
	s_xor_b64 s[22:23], s[22:23], 0
	s_mul_i32 s24, s22, s7
	s_mul_hi_u32 s25, s22, s1
	s_mul_hi_u32 s9, s22, s7
	s_add_u32 s24, s25, s24
	s_addc_u32 s9, 0, s9
	s_mul_hi_u32 s26, s23, s1
	s_mul_i32 s1, s23, s1
	s_add_u32 s1, s24, s1
	s_mul_hi_u32 s25, s23, s7
	s_addc_u32 s1, s9, s26
	s_addc_u32 s9, s25, 0
	s_mul_i32 s7, s23, s7
	s_add_u32 s1, s1, s7
	s_addc_u32 s7, 0, s9
	s_mul_i32 s7, s20, s7
	s_mul_hi_u32 s9, s20, s1
	s_add_i32 s7, s9, s7
	s_mul_i32 s9, s21, s1
	s_add_i32 s7, s7, s9
	s_sub_i32 s9, s23, s7
	s_mul_i32 s1, s20, s1
	s_sub_u32 s1, s22, s1
	s_cselect_b64 s[24:25], -1, 0
	s_cmp_lg_u64 s[24:25], 0
	s_subb_u32 s9, s9, s21
	s_sub_u32 s22, s1, s20
	s_cselect_b64 s[26:27], -1, 0
	s_cmp_lg_u64 s[26:27], 0
	s_subb_u32 s30, s9, 0
	s_cmp_ge_u32 s30, s21
	s_cselect_b32 s31, -1, 0
	s_cmp_ge_u32 s22, s20
	s_cselect_b32 s33, -1, 0
	s_cmp_eq_u32 s30, s21
	s_cselect_b32 s31, s33, s31
	s_cmp_lg_u64 s[26:27], 0
	s_subb_u32 s9, s9, s21
	s_sub_u32 s33, s22, s20
	s_cselect_b64 s[26:27], -1, 0
	s_cmp_lg_u64 s[26:27], 0
	s_subb_u32 s9, s9, 0
	s_cmp_lg_u32 s31, 0
	s_cselect_b32 s22, s33, s22
	s_cselect_b32 s9, s9, s30
	s_cmp_lg_u64 s[24:25], 0
	s_subb_u32 s7, s23, s7
	s_cmp_ge_u32 s7, s21
	s_cselect_b32 s23, -1, 0
	s_cmp_ge_u32 s1, s20
	s_cselect_b32 s20, -1, 0
	s_cmp_eq_u32 s7, s21
	s_cselect_b32 s20, s20, s23
	s_cmp_lg_u32 s20, 0
	s_cselect_b32 s21, s9, s7
	s_cselect_b32 s20, s22, s1
	s_xor_b64 s[20:21], s[20:21], 0
	s_sub_u32 s30, s20, 0
	s_subb_u32 s31, s21, 0
	s_cbranch_execnz .LBB14_6
.LBB14_5:
	v_cvt_f32_u32_e32 v1, s0
	s_sub_i32 s1, 0, s0
	s_mov_b32 s31, 0
	v_rcp_iflag_f32_e32 v1, v1
	v_mul_f32_e32 v1, 0x4f7ffffe, v1
	v_cvt_u32_f32_e32 v1, v1
	v_readfirstlane_b32 s2, v1
	s_mul_i32 s1, s1, s2
	s_mul_hi_u32 s1, s2, s1
	s_add_i32 s2, s2, s1
	s_mul_hi_u32 s1, s8, s2
	s_mul_i32 s1, s1, s0
	s_sub_i32 s1, s8, s1
	s_sub_i32 s2, s1, s0
	s_cmp_ge_u32 s1, s0
	s_cselect_b32 s1, s2, s1
	s_sub_i32 s2, s1, s0
	s_cmp_ge_u32 s1, s0
	s_cselect_b32 s30, s2, s1
.LBB14_6:
	s_load_dwordx2 s[34:35], s[4:5], 0xa0
	s_waitcnt lgkmcnt(0)
	v_cmp_le_f32_e64 s[0:1], s19, 0
	s_and_b64 vcc, exec, s[0:1]
	v_mov_b32_e32 v6, 1.0
	s_cbranch_vccnz .LBB14_8
; %bb.7:
	s_load_dword s2, s[4:5], 0x28
	s_load_dwordx2 s[0:1], s[4:5], 0x98
	s_add_i32 s3, s10, 1
	s_waitcnt lgkmcnt(0)
	s_sub_i32 s7, s10, s2
	v_mov_b32_e32 v2, s0
	s_lshl_b32 s0, s7, 1
	s_or_b32 s7, s0, 1
	s_cmp_lt_u32 s10, s2
	s_cselect_b64 vcc, -1, 0
	v_mov_b32_e32 v1, s1
	s_and_b64 s[0:1], vcc, exec
	s_cselect_b32 s0, s3, s7
	v_cndmask_b32_e32 v1, v1, v2, vcc
	v_cvt_f32_i32_e32 v2, s0
	v_cmp_neq_f32_e32 vcc, 1.0, v1
	s_mov_b32 s0, 0x3f2aaaab
	s_movk_i32 s2, 0x204
	v_cndmask_b32_e32 v2, 1.0, v2, vcc
	v_cmp_neq_f32_e32 vcc, 0, v2
	v_cndmask_b32_e32 v1, 1.0, v1, vcc
	v_frexp_mant_f32_e64 v3, |v1|
	v_cmp_gt_f32_e32 vcc, s0, v3
	v_cndmask_b32_e64 v4, 1.0, 2.0, vcc
	v_mul_f32_e32 v3, v3, v4
	v_add_f32_e32 v4, 1.0, v3
	v_rcp_f32_e32 v5, v4
	v_add_f32_e32 v6, -1.0, v3
	v_add_f32_e32 v7, -1.0, v4
	v_sub_f32_e32 v3, v3, v7
	v_mul_f32_e32 v7, v6, v5
	v_mul_f32_e32 v8, v4, v7
	v_fma_f32 v4, v7, v4, -v8
	v_fmac_f32_e32 v4, v7, v3
	v_add_f32_e32 v3, v8, v4
	v_sub_f32_e32 v9, v6, v3
	v_sub_f32_e32 v8, v3, v8
	;; [unrolled: 1-line block ×5, first 2 shown]
	v_add_f32_e32 v3, v4, v3
	v_add_f32_e32 v3, v9, v3
	v_mul_f32_e32 v3, v5, v3
	v_add_f32_e32 v5, v7, v3
	v_sub_f32_e32 v4, v5, v7
	v_sub_f32_e32 v6, v3, v4
	v_mul_f32_e32 v3, v5, v5
	v_fma_f32 v4, v5, v5, -v3
	v_add_f32_e32 v7, v6, v6
	v_fmac_f32_e32 v4, v5, v7
	v_add_f32_e32 v7, v3, v4
	v_mov_b32_e32 v8, 0x3e91f4c4
	v_sub_f32_e32 v3, v7, v3
	v_fmac_f32_e32 v8, 0x3e76c4e1, v7
	v_mov_b32_e32 v9, 0x3ecccdef
	v_sub_f32_e32 v3, v4, v3
	v_mul_f32_e32 v4, v5, v7
	v_fmac_f32_e32 v9, v7, v8
	v_fma_f32 v8, v7, v5, -v4
	v_fmac_f32_e32 v8, v7, v6
	v_fmac_f32_e32 v8, v3, v5
	v_add_f32_e32 v10, v4, v8
	v_sub_f32_e32 v4, v10, v4
	v_sub_f32_e32 v8, v8, v4
	v_mul_f32_e32 v4, v7, v9
	v_fma_f32 v7, v7, v9, -v4
	v_fmac_f32_e32 v7, v3, v9
	v_add_f32_e32 v9, v4, v7
	v_sub_f32_e32 v3, v9, v4
	v_sub_f32_e32 v7, v7, v3
	v_cvt_f64_f32_e64 v[3:4], |v1|
	v_add_f32_e32 v11, 0x3f2aaaaa, v9
	v_add_f32_e32 v12, 0xbf2aaaaa, v11
	;; [unrolled: 1-line block ×3, first 2 shown]
	v_frexp_exp_i32_f64_e32 v3, v[3:4]
	v_sub_f32_e32 v9, v9, v12
	v_add_f32_e32 v4, v7, v9
	v_add_f32_e32 v7, v11, v4
	v_sub_f32_e32 v9, v11, v7
	v_add_f32_e32 v4, v4, v9
	v_mul_f32_e32 v9, v10, v7
	v_fma_f32 v11, v10, v7, -v9
	v_subbrev_co_u32_e32 v3, vcc, 0, v3, vcc
	v_cvt_f32_i32_e32 v3, v3
	v_fmac_f32_e32 v11, v10, v4
	s_mov_b32 s0, 0x3f317218
	v_fmac_f32_e32 v11, v8, v7
	v_mul_f32_e32 v4, 0x3f317218, v3
	v_fma_f32 v7, v3, s0, -v4
	v_fmac_f32_e32 v7, 0xb102e308, v3
	v_ldexp_f32 v3, v6, 1
	v_add_f32_e32 v6, v4, v7
	v_sub_f32_e32 v4, v6, v4
	v_ldexp_f32 v5, v5, 1
	v_sub_f32_e32 v4, v7, v4
	v_add_f32_e32 v7, v9, v11
	v_sub_f32_e32 v8, v7, v9
	v_add_f32_e32 v9, v5, v7
	v_sub_f32_e32 v8, v11, v8
	v_sub_f32_e32 v5, v9, v5
	;; [unrolled: 1-line block ×3, first 2 shown]
	v_add_f32_e32 v3, v3, v8
	v_add_f32_e32 v3, v3, v5
	;; [unrolled: 1-line block ×3, first 2 shown]
	v_sub_f32_e32 v7, v5, v9
	v_sub_f32_e32 v3, v3, v7
	v_add_f32_e32 v7, v6, v5
	v_sub_f32_e32 v8, v7, v6
	v_sub_f32_e32 v9, v7, v8
	v_sub_f32_e32 v6, v6, v9
	v_sub_f32_e32 v5, v5, v8
	v_add_f32_e32 v5, v5, v6
	v_add_f32_e32 v6, v4, v3
	v_sub_f32_e32 v8, v6, v4
	v_sub_f32_e32 v9, v6, v8
	v_sub_f32_e32 v4, v4, v9
	v_sub_f32_e32 v3, v3, v8
	v_add_f32_e32 v3, v3, v4
	v_add_f32_e32 v4, v6, v5
	;; [unrolled: 1-line block ×3, first 2 shown]
	v_sub_f32_e32 v6, v5, v7
	v_sub_f32_e32 v4, v4, v6
	v_add_f32_e32 v3, v3, v4
	v_add_f32_e32 v4, v5, v3
	v_sub_f32_e32 v5, v4, v5
	v_sub_f32_e32 v3, v3, v5
	v_mul_f32_e32 v5, v2, v4
	v_fma_f32 v4, v2, v4, -v5
	v_fmac_f32_e32 v4, v2, v3
	v_add_f32_e32 v3, v5, v4
	v_cmp_class_f32_e64 vcc, v5, s2
	v_sub_f32_e32 v6, v3, v5
	v_cndmask_b32_e32 v3, v3, v5, vcc
	s_mov_b32 s1, 0x42b17218
	v_mov_b32_e32 v5, 0x37000000
	v_cmp_eq_f32_e32 vcc, s1, v3
	v_cndmask_b32_e32 v5, 0, v5, vcc
	v_sub_f32_e32 v4, v4, v6
	v_sub_f32_e32 v6, v3, v5
	s_mov_b32 s3, 0x3fb8aa3b
	v_mul_f32_e32 v7, 0x3fb8aa3b, v6
	v_fma_f32 v8, v6, s3, -v7
	v_rndne_f32_e32 v9, v7
	v_fmac_f32_e32 v8, 0x32a5705f, v6
	v_sub_f32_e32 v7, v7, v9
	v_add_f32_e32 v7, v7, v8
	v_exp_f32_e32 v7, v7
	v_cvt_i32_f32_e32 v8, v9
	s_mov_b32 s0, 0x7f800000
	v_cmp_neq_f32_e64 vcc, |v3|, s0
	s_mov_b32 s0, 0xc2ce8ed0
	v_cndmask_b32_e32 v3, 0, v4, vcc
	v_ldexp_f32 v4, v7, v8
	v_cmp_ngt_f32_e32 vcc, s0, v6
	v_add_f32_e32 v3, v5, v3
	v_cndmask_b32_e32 v4, 0, v4, vcc
	v_mov_b32_e32 v5, 0x7f800000
	v_cmp_nlt_f32_e32 vcc, s1, v6
	v_cndmask_b32_e32 v4, v5, v4, vcc
	v_fma_f32 v3, v4, v3, v4
	v_cmp_class_f32_e64 vcc, v4, s2
	v_cndmask_b32_e32 v3, v3, v4, vcc
	v_trunc_f32_e32 v4, v2
	v_cmp_eq_f32_e32 vcc, v4, v2
	v_mul_f32_e32 v4, 0.5, v2
	v_trunc_f32_e32 v7, v4
	v_cmp_neq_f32_e64 s[0:1], v7, v4
	s_and_b64 s[0:1], vcc, s[0:1]
	v_cndmask_b32_e64 v4, 1.0, v1, s[0:1]
	s_brev_b32 s7, -2
	v_mov_b32_e32 v6, 0x7fc00000
	v_bfi_b32 v3, s7, v3, v4
	v_cndmask_b32_e32 v4, v6, v3, vcc
	v_cmp_gt_f32_e32 vcc, 0, v1
	v_cndmask_b32_e32 v3, v3, v4, vcc
	v_cmp_class_f32_e64 s[20:21], v1, s2
	v_cmp_eq_f32_e32 vcc, 0, v1
	v_cmp_gt_f32_e64 s[2:3], 0, v2
	s_xor_b64 s[2:3], s[2:3], vcc
	v_cndmask_b32_e64 v2, v5, 0, s[2:3]
	v_cndmask_b32_e64 v4, 0, v1, s[0:1]
	v_bfi_b32 v2, s7, v2, v4
	s_or_b64 vcc, vcc, s[20:21]
	v_cndmask_b32_e32 v2, v3, v2, vcc
	v_cmp_o_f32_e32 vcc, v1, v1
	v_cndmask_b32_e32 v6, v6, v2, vcc
.LBB14_8:
	s_load_dwordx8 s[20:27], s[4:5], 0x0
	s_waitcnt lgkmcnt(0)
	s_cmp_lg_u64 s[24:25], 0
	s_cselect_b64 s[2:3], -1, 0
	s_cmp_eq_u64 s[24:25], 0
	s_cbranch_scc1 .LBB14_12
; %bb.9:
	s_lshl_b64 s[0:1], s[10:11], 2
	s_add_u32 s0, s24, s0
	s_addc_u32 s1, s25, s1
	s_load_dword s19, s[0:1], 0x0
	s_branch .LBB14_13
.LBB14_10:
                                        ; implicit-def: $sgpr28_sgpr29
	s_branch .LBB14_2
.LBB14_11:
                                        ; implicit-def: $sgpr30_sgpr31
	s_branch .LBB14_5
.LBB14_12:
	s_mov_b32 s19, 0xff800000
.LBB14_13:
	s_mul_i32 s0, s35, s8
	s_add_i32 s0, s0, s10
	s_mul_i32 s0, s0, s34
	s_add_i32 s4, s0, s6
	s_ashr_i32 s5, s4, 31
	s_lshl_b64 s[0:1], s[4:5], 14
	s_add_u32 s8, s20, s0
	s_addc_u32 s9, s21, s1
	v_lshlrev_b32_e32 v1, 2, v0
	global_load_dword v3, v1, s[8:9]
	s_mul_i32 s0, s13, s6
	s_mul_hi_u32 s1, s12, s6
	s_add_i32 s1, s1, s0
	s_mul_i32 s0, s12, s6
	s_mul_i32 s6, s28, s15
	s_mul_hi_u32 s7, s28, s14
	s_add_i32 s6, s7, s6
	s_mul_i32 s7, s29, s14
	s_add_i32 s6, s6, s7
	s_mul_i32 s7, s28, s14
	s_add_u32 s0, s7, s0
	s_addc_u32 s1, s6, s1
	s_mul_i32 s6, s30, s17
	s_mul_hi_u32 s7, s30, s16
	s_add_i32 s6, s7, s6
	s_mul_i32 s7, s31, s16
	s_add_i32 s6, s6, s7
	s_mul_i32 s7, s30, s16
	s_add_u32 s0, s0, s7
	s_addc_u32 s1, s1, s6
	s_lshr_b64 s[0:1], s[0:1], 2
	s_cmp_lg_u64 s[22:23], 0
	s_cselect_b64 s[12:13], -1, 0
	s_and_b64 vcc, s[12:13], exec
	s_cselect_b32 s1, s1, 0
	s_cselect_b32 s0, s0, 0
	s_lshl_b64 s[0:1], s[0:1], 2
	s_add_u32 s6, s22, s0
	s_addc_u32 s7, s23, s1
	v_mov_b32_e32 v7, 0
	v_mov_b32_e32 v8, 0
	s_cbranch_vccz .LBB14_15
; %bb.14:
	global_load_dword v2, v1, s[6:7]
	s_waitcnt vmcnt(0)
	v_mul_f32_e32 v8, v6, v2
.LBB14_15:
	v_or_b32_e32 v2, 0x400, v0
	v_lshlrev_b32_e32 v2, 2, v2
	global_load_dword v5, v2, s[8:9]
	v_cndmask_b32_e64 v4, 0, 1, s[12:13]
	s_waitcnt vmcnt(1)
	v_fmac_f32_e32 v8, s18, v3
	v_lshl_add_u32 v3, v0, 2, 0
	v_cmp_ne_u32_e64 s[0:1], 1, v4
	s_andn2_b64 vcc, exec, s[12:13]
	ds_write_b32 v3, v8 offset:128
	s_cbranch_vccnz .LBB14_17
; %bb.16:
	global_load_dword v4, v2, s[6:7]
	s_waitcnt vmcnt(0)
	v_mul_f32_e32 v7, v6, v4
.LBB14_17:
	v_or_b32_e32 v4, 0x800, v0
	v_lshlrev_b32_e32 v4, 2, v4
	global_load_dword v10, v4, s[8:9]
	s_waitcnt vmcnt(1)
	v_fmac_f32_e32 v7, s18, v5
	v_mov_b32_e32 v11, 0
	s_and_b64 vcc, exec, s[0:1]
	v_mov_b32_e32 v9, 0
	ds_write_b32 v3, v7 offset:4224
	s_cbranch_vccnz .LBB14_19
; %bb.18:
	global_load_dword v5, v4, s[6:7]
	s_waitcnt vmcnt(0)
	v_mul_f32_e32 v9, v6, v5
.LBB14_19:
	v_or_b32_e32 v5, 0xc00, v0
	v_lshlrev_b32_e32 v5, 2, v5
	global_load_dword v12, v5, s[8:9]
	s_waitcnt vmcnt(1)
	v_fmac_f32_e32 v9, s18, v10
	s_and_b64 vcc, exec, s[0:1]
	ds_write_b32 v3, v9 offset:8320
	s_cbranch_vccnz .LBB14_21
; %bb.20:
	global_load_dword v10, v5, s[6:7]
	s_waitcnt vmcnt(0)
	v_mul_f32_e32 v11, v6, v10
.LBB14_21:
	s_waitcnt lgkmcnt(0)
	v_max3_f32 v6, s19, v8, v7
	s_waitcnt vmcnt(0)
	v_fmac_f32_e32 v11, s18, v12
	v_max3_f32 v7, v6, v9, v11
	v_mbcnt_lo_u32_b32 v6, -1, 0
	v_mbcnt_hi_u32_b32 v10, -1, v6
	v_and_b32_e32 v6, 0x60, v10
	v_add_u32_e32 v13, 32, v6
	v_xor_b32_e32 v6, 16, v10
	v_cmp_lt_i32_e32 vcc, v6, v13
	v_cndmask_b32_e32 v6, v10, v6, vcc
	v_lshlrev_b32_e32 v6, 2, v6
	ds_bpermute_b32 v8, v6, v7
	ds_write_b32 v3, v11 offset:12416
	v_and_b32_e32 v11, 31, v0
	v_lshrrev_b32_e32 v0, 3, v0
	s_waitcnt lgkmcnt(1)
	v_max_f32_e32 v8, v8, v8
	v_max_f32_e32 v8, v7, v8
	v_xor_b32_e32 v7, 8, v10
	v_cmp_lt_i32_e32 vcc, v7, v13
	v_cndmask_b32_e32 v7, v10, v7, vcc
	v_lshlrev_b32_e32 v7, 2, v7
	ds_bpermute_b32 v9, v7, v8
	s_waitcnt lgkmcnt(0)
	v_max_f32_e32 v9, v9, v9
	v_max_f32_e32 v9, v8, v9
	v_xor_b32_e32 v8, 4, v10
	v_cmp_lt_i32_e32 vcc, v8, v13
	v_cndmask_b32_e32 v8, v10, v8, vcc
	v_lshlrev_b32_e32 v8, 2, v8
	ds_bpermute_b32 v12, v8, v9
	;; [unrolled: 8-line block ×4, first 2 shown]
	v_cmp_eq_u32_e32 vcc, 0, v11
	s_and_saveexec_b64 s[0:1], vcc
	s_xor_b64 s[0:1], exec, s[0:1]
	s_cbranch_execz .LBB14_23
; %bb.22:
	s_waitcnt lgkmcnt(0)
	v_max_f32_e32 v13, v13, v13
	v_max_f32_e32 v12, v12, v12
	;; [unrolled: 1-line block ×3, first 2 shown]
	v_add_u32_e32 v13, 0, v0
	ds_write_b32 v13, v12
.LBB14_23:
	s_or_b64 exec, exec, s[0:1]
	v_lshl_add_u32 v11, v11, 2, 0
	s_waitcnt lgkmcnt(0)
	s_barrier
	ds_read_b32 v12, v11
	v_add_u32_e32 v15, 0x80, v3
	s_mov_b32 s6, 0x3fb8aa3b
	s_mov_b32 s7, 0xc2ce8ed0
	;; [unrolled: 1-line block ×3, first 2 shown]
	s_waitcnt lgkmcnt(0)
	ds_bpermute_b32 v13, v6, v12
	v_max_f32_e32 v12, v12, v12
	v_mov_b32_e32 v22, 0x7f800000
	s_waitcnt lgkmcnt(0)
	v_max_f32_e32 v13, v13, v13
	v_max_f32_e32 v12, v12, v13
	ds_bpermute_b32 v13, v7, v12
	s_waitcnt lgkmcnt(0)
	v_max_f32_e32 v13, v13, v13
	v_max_f32_e32 v12, v12, v13
	ds_bpermute_b32 v13, v8, v12
	s_waitcnt lgkmcnt(0)
	v_max_f32_e32 v13, v13, v13
	v_max_f32_e32 v12, v12, v13
	ds_bpermute_b32 v13, v9, v12
	s_waitcnt lgkmcnt(0)
	v_max_f32_e32 v13, v13, v13
	v_max_f32_e32 v12, v12, v13
	ds_bpermute_b32 v16, v10, v12
	ds_read2st64_b32 v[13:14], v15 offset1:16
	s_waitcnt lgkmcnt(1)
	v_max_f32_e32 v16, v16, v16
	v_max_f32_e32 v12, v12, v16
	s_waitcnt lgkmcnt(0)
	v_sub_f32_e32 v16, v13, v12
	v_sub_f32_e32 v17, v14, v12
	v_mul_f32_e32 v13, 0x3fb8aa3b, v16
	v_mul_f32_e32 v14, 0x3fb8aa3b, v17
	v_fma_f32 v18, v16, s6, -v13
	v_rndne_f32_e32 v19, v13
	v_fma_f32 v20, v17, s6, -v14
	v_rndne_f32_e32 v21, v14
	v_fmac_f32_e32 v18, 0x32a5705f, v16
	v_sub_f32_e32 v13, v13, v19
	v_fmac_f32_e32 v20, 0x32a5705f, v17
	v_sub_f32_e32 v14, v14, v21
	v_add_f32_e32 v13, v13, v18
	v_cvt_i32_f32_e32 v19, v19
	v_add_f32_e32 v14, v14, v20
	v_exp_f32_e32 v18, v13
	v_exp_f32_e32 v20, v14
	ds_read2st64_b32 v[13:14], v15 offset0:32 offset1:48
	v_cvt_i32_f32_e32 v21, v21
	v_ldexp_f32 v18, v18, v19
	v_cmp_ngt_f32_e64 s[0:1], s7, v16
	v_cndmask_b32_e64 v18, 0, v18, s[0:1]
	v_cmp_nlt_f32_e64 s[0:1], s8, v16
	v_ldexp_f32 v19, v20, v21
	v_cndmask_b32_e64 v16, v22, v18, s[0:1]
	v_cmp_ngt_f32_e64 s[0:1], s7, v17
	s_waitcnt lgkmcnt(0)
	v_sub_f32_e32 v13, v13, v12
	v_cndmask_b32_e64 v18, 0, v19, s[0:1]
	v_mul_f32_e32 v19, 0x3fb8aa3b, v13
	v_fma_f32 v20, v13, s6, -v19
	v_rndne_f32_e32 v21, v19
	v_fmac_f32_e32 v20, 0x32a5705f, v13
	v_sub_f32_e32 v19, v19, v21
	v_add_f32_e32 v19, v19, v20
	v_exp_f32_e32 v19, v19
	v_cvt_i32_f32_e32 v20, v21
	v_sub_f32_e32 v14, v14, v12
	v_cmp_nlt_f32_e64 s[0:1], s8, v17
	v_cndmask_b32_e64 v17, v22, v18, s[0:1]
	v_ldexp_f32 v19, v19, v20
	v_mul_f32_e32 v20, 0x3fb8aa3b, v14
	v_fma_f32 v21, v14, s6, -v20
	v_rndne_f32_e32 v23, v20
	v_fmac_f32_e32 v21, 0x32a5705f, v14
	v_sub_f32_e32 v20, v20, v23
	v_add_f32_e32 v20, v20, v21
	v_exp_f32_e32 v20, v20
	v_cvt_i32_f32_e32 v21, v23
	v_cmp_ngt_f32_e64 s[0:1], s7, v13
	v_cndmask_b32_e64 v19, 0, v19, s[0:1]
	v_cmp_nlt_f32_e64 s[0:1], s8, v13
	v_add_f32_e32 v18, v16, v17
	v_cndmask_b32_e64 v19, v22, v19, s[0:1]
	v_add_f32_e32 v13, v18, v19
	v_ldexp_f32 v18, v20, v21
	v_cmp_ngt_f32_e64 s[0:1], s7, v14
	v_cndmask_b32_e64 v18, 0, v18, s[0:1]
	v_cmp_nlt_f32_e64 s[0:1], s8, v14
	v_cndmask_b32_e64 v18, v22, v18, s[0:1]
	v_add_f32_e32 v13, v13, v18
	ds_bpermute_b32 v14, v6, v13
	ds_write2st64_b32 v15, v16, v17 offset1:16
	ds_write2st64_b32 v15, v19, v18 offset0:32 offset1:48
	s_waitcnt lgkmcnt(2)
	v_add_f32_e32 v13, v13, v14
	ds_bpermute_b32 v14, v7, v13
	s_waitcnt lgkmcnt(0)
	v_add_f32_e32 v13, v13, v14
	ds_bpermute_b32 v14, v8, v13
	;; [unrolled: 3-line block ×4, first 2 shown]
	s_and_saveexec_b64 s[0:1], vcc
	s_cbranch_execz .LBB14_25
; %bb.24:
	s_waitcnt lgkmcnt(0)
	v_add_f32_e32 v13, v13, v14
	v_add_u32_e32 v0, 0, v0
	ds_write_b32 v0, v13
.LBB14_25:
	s_or_b64 exec, exec, s[0:1]
	s_waitcnt lgkmcnt(0)
	s_barrier
	ds_read_b32 v0, v11
	s_lshl_b64 s[0:1], s[4:5], 12
	s_andn2_b64 vcc, exec, s[2:3]
	s_waitcnt lgkmcnt(0)
	ds_bpermute_b32 v6, v6, v0
	s_waitcnt lgkmcnt(0)
	v_add_f32_e32 v0, v0, v6
	ds_bpermute_b32 v6, v7, v0
	s_waitcnt lgkmcnt(0)
	v_add_f32_e32 v0, v0, v6
	;; [unrolled: 3-line block ×5, first 2 shown]
	s_cbranch_vccnz .LBB14_27
; %bb.26:
	s_lshl_b64 s[2:3], s[10:11], 2
	s_add_u32 s2, s24, s2
	s_addc_u32 s3, s25, s3
	s_load_dword s2, s[2:3], 0x0
	s_mov_b32 s3, 0x3fb8aa3b
	s_waitcnt lgkmcnt(0)
	v_sub_f32_e32 v6, s2, v12
	v_mul_f32_e32 v7, 0x3fb8aa3b, v6
	v_fma_f32 v8, v6, s3, -v7
	v_rndne_f32_e32 v9, v7
	v_fmac_f32_e32 v8, 0x32a5705f, v6
	v_sub_f32_e32 v7, v7, v9
	v_add_f32_e32 v7, v7, v8
	v_cvt_i32_f32_e32 v9, v9
	v_exp_f32_e32 v7, v7
	s_mov_b32 s2, 0xc2ce8ed0
	s_mov_b32 s3, 0x42b17218
	v_cmp_ngt_f32_e32 vcc, s2, v6
	v_ldexp_f32 v7, v7, v9
	v_cndmask_b32_e32 v7, 0, v7, vcc
	v_mov_b32_e32 v8, 0x7f800000
	v_cmp_nlt_f32_e32 vcc, s3, v6
	v_cndmask_b32_e32 v6, v8, v7, vcc
	v_add_f32_e32 v0, v0, v6
.LBB14_27:
	v_div_scale_f32 v6, s[2:3], v0, v0, 1.0
	v_div_scale_f32 v7, vcc, 1.0, v0, 1.0
	v_add_u32_e32 v3, 0x80, v3
	s_lshl_b64 s[0:1], s[0:1], 2
	s_add_u32 s0, s26, s0
	s_addc_u32 s1, s27, s1
	v_rcp_f32_e32 v8, v6
	v_fma_f32 v9, -v6, v8, 1.0
	v_fmac_f32_e32 v8, v9, v8
	v_mul_f32_e32 v9, v7, v8
	v_fma_f32 v10, -v6, v9, v7
	v_fmac_f32_e32 v9, v10, v8
	v_fma_f32 v6, -v6, v9, v7
	v_div_fmas_f32 v10, v6, v8, v9
	ds_read2st64_b32 v[6:7], v3 offset1:16
	ds_read2st64_b32 v[8:9], v3 offset0:32 offset1:48
	v_div_fixup_f32 v0, v10, v0, 1.0
	s_waitcnt lgkmcnt(1)
	v_mul_f32_e32 v3, v0, v6
	v_mul_f32_e32 v6, v0, v7
	s_waitcnt lgkmcnt(0)
	v_mul_f32_e32 v7, v0, v8
	v_mul_f32_e32 v0, v0, v9
	global_store_dword v1, v3, s[0:1]
	global_store_dword v2, v6, s[0:1]
	;; [unrolled: 1-line block ×4, first 2 shown]
	s_endpgm
	.section	.rodata,"a",@progbits
	.p2align	6, 0x0
	.amdhsa_kernel _ZL12soft_max_f32ILb1ELi4096ELi1024EfEvPKfPKT2_S1_Pf15soft_max_params
		.amdhsa_group_segment_fixed_size 0
		.amdhsa_private_segment_fixed_size 0
		.amdhsa_kernarg_size 416
		.amdhsa_user_sgpr_count 6
		.amdhsa_user_sgpr_private_segment_buffer 1
		.amdhsa_user_sgpr_dispatch_ptr 0
		.amdhsa_user_sgpr_queue_ptr 0
		.amdhsa_user_sgpr_kernarg_segment_ptr 1
		.amdhsa_user_sgpr_dispatch_id 0
		.amdhsa_user_sgpr_flat_scratch_init 0
		.amdhsa_user_sgpr_private_segment_size 0
		.amdhsa_uses_dynamic_stack 0
		.amdhsa_system_sgpr_private_segment_wavefront_offset 0
		.amdhsa_system_sgpr_workgroup_id_x 1
		.amdhsa_system_sgpr_workgroup_id_y 1
		.amdhsa_system_sgpr_workgroup_id_z 1
		.amdhsa_system_sgpr_workgroup_info 0
		.amdhsa_system_vgpr_workitem_id 0
		.amdhsa_next_free_vgpr 24
		.amdhsa_next_free_sgpr 36
		.amdhsa_reserve_vcc 1
		.amdhsa_reserve_flat_scratch 0
		.amdhsa_float_round_mode_32 0
		.amdhsa_float_round_mode_16_64 0
		.amdhsa_float_denorm_mode_32 3
		.amdhsa_float_denorm_mode_16_64 3
		.amdhsa_dx10_clamp 1
		.amdhsa_ieee_mode 1
		.amdhsa_fp16_overflow 0
		.amdhsa_exception_fp_ieee_invalid_op 0
		.amdhsa_exception_fp_denorm_src 0
		.amdhsa_exception_fp_ieee_div_zero 0
		.amdhsa_exception_fp_ieee_overflow 0
		.amdhsa_exception_fp_ieee_underflow 0
		.amdhsa_exception_fp_ieee_inexact 0
		.amdhsa_exception_int_div_zero 0
	.end_amdhsa_kernel
	.section	.text._ZL12soft_max_f32ILb1ELi4096ELi1024EfEvPKfPKT2_S1_Pf15soft_max_params,"axG",@progbits,_ZL12soft_max_f32ILb1ELi4096ELi1024EfEvPKfPKT2_S1_Pf15soft_max_params,comdat
.Lfunc_end14:
	.size	_ZL12soft_max_f32ILb1ELi4096ELi1024EfEvPKfPKT2_S1_Pf15soft_max_params, .Lfunc_end14-_ZL12soft_max_f32ILb1ELi4096ELi1024EfEvPKfPKT2_S1_Pf15soft_max_params
                                        ; -- End function
	.set _ZL12soft_max_f32ILb1ELi4096ELi1024EfEvPKfPKT2_S1_Pf15soft_max_params.num_vgpr, 24
	.set _ZL12soft_max_f32ILb1ELi4096ELi1024EfEvPKfPKT2_S1_Pf15soft_max_params.num_agpr, 0
	.set _ZL12soft_max_f32ILb1ELi4096ELi1024EfEvPKfPKT2_S1_Pf15soft_max_params.numbered_sgpr, 36
	.set _ZL12soft_max_f32ILb1ELi4096ELi1024EfEvPKfPKT2_S1_Pf15soft_max_params.num_named_barrier, 0
	.set _ZL12soft_max_f32ILb1ELi4096ELi1024EfEvPKfPKT2_S1_Pf15soft_max_params.private_seg_size, 0
	.set _ZL12soft_max_f32ILb1ELi4096ELi1024EfEvPKfPKT2_S1_Pf15soft_max_params.uses_vcc, 1
	.set _ZL12soft_max_f32ILb1ELi4096ELi1024EfEvPKfPKT2_S1_Pf15soft_max_params.uses_flat_scratch, 0
	.set _ZL12soft_max_f32ILb1ELi4096ELi1024EfEvPKfPKT2_S1_Pf15soft_max_params.has_dyn_sized_stack, 0
	.set _ZL12soft_max_f32ILb1ELi4096ELi1024EfEvPKfPKT2_S1_Pf15soft_max_params.has_recursion, 0
	.set _ZL12soft_max_f32ILb1ELi4096ELi1024EfEvPKfPKT2_S1_Pf15soft_max_params.has_indirect_call, 0
	.section	.AMDGPU.csdata,"",@progbits
; Kernel info:
; codeLenInByte = 4120
; TotalNumSgprs: 40
; NumVgprs: 24
; ScratchSize: 0
; MemoryBound: 0
; FloatMode: 240
; IeeeMode: 1
; LDSByteSize: 0 bytes/workgroup (compile time only)
; SGPRBlocks: 4
; VGPRBlocks: 5
; NumSGPRsForWavesPerEU: 40
; NumVGPRsForWavesPerEU: 24
; Occupancy: 10
; WaveLimiterHint : 1
; COMPUTE_PGM_RSRC2:SCRATCH_EN: 0
; COMPUTE_PGM_RSRC2:USER_SGPR: 6
; COMPUTE_PGM_RSRC2:TRAP_HANDLER: 0
; COMPUTE_PGM_RSRC2:TGID_X_EN: 1
; COMPUTE_PGM_RSRC2:TGID_Y_EN: 1
; COMPUTE_PGM_RSRC2:TGID_Z_EN: 1
; COMPUTE_PGM_RSRC2:TIDIG_COMP_CNT: 0
	.section	.text._ZL12soft_max_f32ILb1ELi2048ELi1024EfEvPKfPKT2_S1_Pf15soft_max_params,"axG",@progbits,_ZL12soft_max_f32ILb1ELi2048ELi1024EfEvPKfPKT2_S1_Pf15soft_max_params,comdat
	.globl	_ZL12soft_max_f32ILb1ELi2048ELi1024EfEvPKfPKT2_S1_Pf15soft_max_params ; -- Begin function _ZL12soft_max_f32ILb1ELi2048ELi1024EfEvPKfPKT2_S1_Pf15soft_max_params
	.p2align	8
	.type	_ZL12soft_max_f32ILb1ELi2048ELi1024EfEvPKfPKT2_S1_Pf15soft_max_params,@function
_ZL12soft_max_f32ILb1ELi2048ELi1024EfEvPKfPKT2_S1_Pf15soft_max_params: ; @_ZL12soft_max_f32ILb1ELi2048ELi1024EfEvPKfPKT2_S1_Pf15soft_max_params
; %bb.0:
	s_load_dwordx8 s[12:19], s[4:5], 0x68
	s_load_dwordx2 s[0:1], s[4:5], 0x88
	s_mov_b32 s11, 0
	s_mov_b32 s2, s11
	;; [unrolled: 1-line block ×3, first 2 shown]
	s_waitcnt lgkmcnt(0)
	s_mov_b32 s3, s19
	s_cmp_lg_u64 s[2:3], 0
	s_cbranch_scc0 .LBB15_10
; %bb.1:
	s_ashr_i32 s2, s19, 31
	s_add_u32 s20, s18, s2
	s_mov_b32 s3, s2
	s_addc_u32 s21, s19, s2
	s_xor_b64 s[20:21], s[20:21], s[2:3]
	v_cvt_f32_u32_e32 v1, s20
	v_cvt_f32_u32_e32 v2, s21
	s_sub_u32 s7, 0, s20
	s_subb_u32 s9, 0, s21
	v_madmk_f32 v1, v2, 0x4f800000, v1
	v_rcp_f32_e32 v1, v1
	v_mul_f32_e32 v1, 0x5f7ffffc, v1
	v_mul_f32_e32 v2, 0x2f800000, v1
	v_trunc_f32_e32 v2, v2
	v_madmk_f32 v1, v2, 0xcf800000, v1
	v_cvt_u32_f32_e32 v2, v2
	v_cvt_u32_f32_e32 v1, v1
	v_readfirstlane_b32 s19, v2
	v_readfirstlane_b32 s22, v1
	s_mul_i32 s23, s7, s19
	s_mul_hi_u32 s25, s7, s22
	s_mul_i32 s24, s9, s22
	s_add_i32 s23, s25, s23
	s_add_i32 s23, s23, s24
	s_mul_i32 s26, s7, s22
	s_mul_i32 s25, s22, s23
	s_mul_hi_u32 s27, s22, s26
	s_mul_hi_u32 s24, s22, s23
	s_add_u32 s25, s27, s25
	s_addc_u32 s24, 0, s24
	s_mul_hi_u32 s28, s19, s26
	s_mul_i32 s26, s19, s26
	s_add_u32 s25, s25, s26
	s_mul_hi_u32 s27, s19, s23
	s_addc_u32 s24, s24, s28
	s_addc_u32 s25, s27, 0
	s_mul_i32 s23, s19, s23
	s_add_u32 s23, s24, s23
	s_addc_u32 s24, 0, s25
	s_add_u32 s25, s22, s23
	s_cselect_b64 s[22:23], -1, 0
	s_cmp_lg_u64 s[22:23], 0
	s_addc_u32 s19, s19, s24
	s_mul_i32 s22, s7, s19
	s_mul_hi_u32 s23, s7, s25
	s_add_i32 s22, s23, s22
	s_mul_i32 s9, s9, s25
	s_add_i32 s22, s22, s9
	s_mul_i32 s7, s7, s25
	s_mul_hi_u32 s23, s19, s7
	s_mul_i32 s24, s19, s7
	s_mul_i32 s27, s25, s22
	s_mul_hi_u32 s7, s25, s7
	s_mul_hi_u32 s26, s25, s22
	s_add_u32 s7, s7, s27
	s_addc_u32 s26, 0, s26
	s_add_u32 s7, s7, s24
	s_mul_hi_u32 s9, s19, s22
	s_addc_u32 s7, s26, s23
	s_addc_u32 s9, s9, 0
	s_mul_i32 s22, s19, s22
	s_add_u32 s7, s7, s22
	s_addc_u32 s9, 0, s9
	s_add_u32 s7, s25, s7
	s_cselect_b64 s[22:23], -1, 0
	s_cmp_lg_u64 s[22:23], 0
	s_addc_u32 s9, s19, s9
	s_add_u32 s22, s10, 0
	s_addc_u32 s23, 0, 0
	s_xor_b64 s[22:23], s[22:23], 0
	s_mul_i32 s24, s22, s9
	s_mul_hi_u32 s25, s22, s7
	s_mul_hi_u32 s19, s22, s9
	s_add_u32 s24, s25, s24
	s_addc_u32 s19, 0, s19
	s_mul_hi_u32 s26, s23, s7
	s_mul_i32 s7, s23, s7
	s_add_u32 s7, s24, s7
	s_mul_hi_u32 s25, s23, s9
	s_addc_u32 s7, s19, s26
	s_addc_u32 s19, s25, 0
	s_mul_i32 s9, s23, s9
	s_add_u32 s7, s7, s9
	s_addc_u32 s9, 0, s19
	s_mul_i32 s9, s20, s9
	s_mul_hi_u32 s19, s20, s7
	s_add_i32 s9, s19, s9
	s_mul_i32 s19, s21, s7
	s_add_i32 s9, s9, s19
	s_sub_i32 s19, s23, s9
	s_mul_i32 s7, s20, s7
	s_sub_u32 s7, s22, s7
	s_cselect_b64 s[24:25], -1, 0
	s_cmp_lg_u64 s[24:25], 0
	s_subb_u32 s19, s19, s21
	s_sub_u32 s22, s7, s20
	s_cselect_b64 s[26:27], -1, 0
	s_cmp_lg_u64 s[26:27], 0
	s_subb_u32 s28, s19, 0
	s_cmp_ge_u32 s28, s21
	s_cselect_b32 s29, -1, 0
	s_cmp_ge_u32 s22, s20
	s_cselect_b32 s30, -1, 0
	s_cmp_eq_u32 s28, s21
	s_cselect_b32 s29, s30, s29
	s_cmp_lg_u64 s[26:27], 0
	s_subb_u32 s19, s19, s21
	s_sub_u32 s30, s22, s20
	s_cselect_b64 s[26:27], -1, 0
	s_cmp_lg_u64 s[26:27], 0
	s_subb_u32 s19, s19, 0
	s_cmp_lg_u32 s29, 0
	s_cselect_b32 s22, s30, s22
	s_cselect_b32 s19, s19, s28
	s_cmp_lg_u64 s[24:25], 0
	s_subb_u32 s9, s23, s9
	s_cmp_ge_u32 s9, s21
	s_cselect_b32 s23, -1, 0
	s_cmp_ge_u32 s7, s20
	s_cselect_b32 s20, -1, 0
	s_cmp_eq_u32 s9, s21
	s_cselect_b32 s20, s20, s23
	s_cmp_lg_u32 s20, 0
	s_cselect_b32 s21, s19, s9
	s_cselect_b32 s20, s22, s7
	s_xor_b64 s[20:21], s[20:21], 0
	s_sub_u32 s28, s20, 0
	s_subb_u32 s29, s21, 0
	s_cbranch_execnz .LBB15_3
.LBB15_2:
	v_cvt_f32_u32_e32 v1, s18
	s_sub_i32 s2, 0, s18
	s_mov_b32 s29, 0
	v_rcp_iflag_f32_e32 v1, v1
	v_mul_f32_e32 v1, 0x4f7ffffe, v1
	v_cvt_u32_f32_e32 v1, v1
	v_readfirstlane_b32 s3, v1
	s_mul_i32 s2, s2, s3
	s_mul_hi_u32 s2, s3, s2
	s_add_i32 s3, s3, s2
	s_mul_hi_u32 s2, s10, s3
	s_mul_i32 s2, s2, s18
	s_sub_i32 s2, s10, s2
	s_sub_i32 s3, s2, s18
	s_cmp_ge_u32 s2, s18
	s_cselect_b32 s2, s3, s2
	s_sub_i32 s3, s2, s18
	s_cmp_ge_u32 s2, s18
	s_cselect_b32 s28, s3, s2
.LBB15_3:
	s_load_dwordx2 s[18:19], s[4:5], 0x90
	s_mov_b32 s2, 0
	s_mov_b32 s3, s1
	s_cmp_lg_u64 s[2:3], 0
	s_cbranch_scc0 .LBB15_11
; %bb.4:
	s_ashr_i32 s2, s1, 31
	s_add_u32 s20, s0, s2
	s_mov_b32 s3, s2
	s_addc_u32 s21, s1, s2
	s_xor_b64 s[20:21], s[20:21], s[2:3]
	v_cvt_f32_u32_e32 v1, s20
	v_cvt_f32_u32_e32 v2, s21
	s_sub_u32 s1, 0, s20
	s_subb_u32 s7, 0, s21
	v_madmk_f32 v1, v2, 0x4f800000, v1
	v_rcp_f32_e32 v1, v1
	v_mul_f32_e32 v1, 0x5f7ffffc, v1
	v_mul_f32_e32 v2, 0x2f800000, v1
	v_trunc_f32_e32 v2, v2
	v_madmk_f32 v1, v2, 0xcf800000, v1
	v_cvt_u32_f32_e32 v2, v2
	v_cvt_u32_f32_e32 v1, v1
	v_readfirstlane_b32 s9, v2
	v_readfirstlane_b32 s22, v1
	s_mul_i32 s23, s1, s9
	s_mul_hi_u32 s25, s1, s22
	s_mul_i32 s24, s7, s22
	s_add_i32 s23, s25, s23
	s_add_i32 s23, s23, s24
	s_mul_i32 s26, s1, s22
	s_mul_i32 s25, s22, s23
	s_mul_hi_u32 s27, s22, s26
	s_mul_hi_u32 s24, s22, s23
	s_add_u32 s25, s27, s25
	s_addc_u32 s24, 0, s24
	s_mul_hi_u32 s30, s9, s26
	s_mul_i32 s26, s9, s26
	s_add_u32 s25, s25, s26
	s_mul_hi_u32 s27, s9, s23
	s_addc_u32 s24, s24, s30
	s_addc_u32 s25, s27, 0
	s_mul_i32 s23, s9, s23
	s_add_u32 s23, s24, s23
	s_addc_u32 s24, 0, s25
	s_add_u32 s25, s22, s23
	s_cselect_b64 s[22:23], -1, 0
	s_cmp_lg_u64 s[22:23], 0
	s_addc_u32 s9, s9, s24
	s_mul_i32 s22, s1, s9
	s_mul_hi_u32 s23, s1, s25
	s_add_i32 s22, s23, s22
	s_mul_i32 s7, s7, s25
	s_add_i32 s22, s22, s7
	s_mul_i32 s1, s1, s25
	s_mul_hi_u32 s23, s9, s1
	s_mul_i32 s24, s9, s1
	s_mul_i32 s27, s25, s22
	s_mul_hi_u32 s1, s25, s1
	s_mul_hi_u32 s26, s25, s22
	s_add_u32 s1, s1, s27
	s_addc_u32 s26, 0, s26
	s_add_u32 s1, s1, s24
	s_mul_hi_u32 s7, s9, s22
	s_addc_u32 s1, s26, s23
	s_addc_u32 s7, s7, 0
	s_mul_i32 s22, s9, s22
	s_add_u32 s1, s1, s22
	s_addc_u32 s7, 0, s7
	s_add_u32 s1, s25, s1
	s_cselect_b64 s[22:23], -1, 0
	s_cmp_lg_u64 s[22:23], 0
	s_addc_u32 s7, s9, s7
	s_add_u32 s22, s8, 0
	s_addc_u32 s23, 0, 0
	s_xor_b64 s[22:23], s[22:23], 0
	s_mul_i32 s24, s22, s7
	s_mul_hi_u32 s25, s22, s1
	s_mul_hi_u32 s9, s22, s7
	s_add_u32 s24, s25, s24
	s_addc_u32 s9, 0, s9
	s_mul_hi_u32 s26, s23, s1
	s_mul_i32 s1, s23, s1
	s_add_u32 s1, s24, s1
	s_mul_hi_u32 s25, s23, s7
	s_addc_u32 s1, s9, s26
	s_addc_u32 s9, s25, 0
	s_mul_i32 s7, s23, s7
	s_add_u32 s1, s1, s7
	s_addc_u32 s7, 0, s9
	s_mul_i32 s7, s20, s7
	s_mul_hi_u32 s9, s20, s1
	s_add_i32 s7, s9, s7
	s_mul_i32 s9, s21, s1
	s_add_i32 s7, s7, s9
	s_sub_i32 s9, s23, s7
	s_mul_i32 s1, s20, s1
	s_sub_u32 s1, s22, s1
	s_cselect_b64 s[24:25], -1, 0
	s_cmp_lg_u64 s[24:25], 0
	s_subb_u32 s9, s9, s21
	s_sub_u32 s22, s1, s20
	s_cselect_b64 s[26:27], -1, 0
	s_cmp_lg_u64 s[26:27], 0
	s_subb_u32 s30, s9, 0
	s_cmp_ge_u32 s30, s21
	s_cselect_b32 s31, -1, 0
	s_cmp_ge_u32 s22, s20
	s_cselect_b32 s33, -1, 0
	s_cmp_eq_u32 s30, s21
	s_cselect_b32 s31, s33, s31
	s_cmp_lg_u64 s[26:27], 0
	s_subb_u32 s9, s9, s21
	s_sub_u32 s33, s22, s20
	s_cselect_b64 s[26:27], -1, 0
	s_cmp_lg_u64 s[26:27], 0
	s_subb_u32 s9, s9, 0
	s_cmp_lg_u32 s31, 0
	s_cselect_b32 s22, s33, s22
	s_cselect_b32 s9, s9, s30
	s_cmp_lg_u64 s[24:25], 0
	s_subb_u32 s7, s23, s7
	s_cmp_ge_u32 s7, s21
	s_cselect_b32 s23, -1, 0
	s_cmp_ge_u32 s1, s20
	s_cselect_b32 s20, -1, 0
	s_cmp_eq_u32 s7, s21
	s_cselect_b32 s20, s20, s23
	s_cmp_lg_u32 s20, 0
	s_cselect_b32 s21, s9, s7
	s_cselect_b32 s20, s22, s1
	s_xor_b64 s[20:21], s[20:21], 0
	s_sub_u32 s30, s20, 0
	s_subb_u32 s31, s21, 0
	s_cbranch_execnz .LBB15_6
.LBB15_5:
	v_cvt_f32_u32_e32 v1, s0
	s_sub_i32 s1, 0, s0
	s_mov_b32 s31, 0
	v_rcp_iflag_f32_e32 v1, v1
	v_mul_f32_e32 v1, 0x4f7ffffe, v1
	v_cvt_u32_f32_e32 v1, v1
	v_readfirstlane_b32 s2, v1
	s_mul_i32 s1, s1, s2
	s_mul_hi_u32 s1, s2, s1
	s_add_i32 s2, s2, s1
	s_mul_hi_u32 s1, s8, s2
	s_mul_i32 s1, s1, s0
	s_sub_i32 s1, s8, s1
	s_sub_i32 s2, s1, s0
	s_cmp_ge_u32 s1, s0
	s_cselect_b32 s1, s2, s1
	s_sub_i32 s2, s1, s0
	s_cmp_ge_u32 s1, s0
	s_cselect_b32 s30, s2, s1
.LBB15_6:
	s_load_dwordx2 s[34:35], s[4:5], 0xa0
	s_waitcnt lgkmcnt(0)
	v_cmp_le_f32_e64 s[0:1], s19, 0
	s_and_b64 vcc, exec, s[0:1]
	v_mov_b32_e32 v4, 1.0
	s_cbranch_vccnz .LBB15_8
; %bb.7:
	s_load_dword s2, s[4:5], 0x28
	s_load_dwordx2 s[0:1], s[4:5], 0x98
	s_add_i32 s3, s10, 1
	s_waitcnt lgkmcnt(0)
	s_sub_i32 s7, s10, s2
	v_mov_b32_e32 v2, s0
	s_lshl_b32 s0, s7, 1
	s_or_b32 s7, s0, 1
	s_cmp_lt_u32 s10, s2
	s_cselect_b64 vcc, -1, 0
	v_mov_b32_e32 v1, s1
	s_and_b64 s[0:1], vcc, exec
	s_cselect_b32 s0, s3, s7
	v_cndmask_b32_e32 v1, v1, v2, vcc
	v_cvt_f32_i32_e32 v2, s0
	v_cmp_neq_f32_e32 vcc, 1.0, v1
	s_mov_b32 s0, 0x3f2aaaab
	s_movk_i32 s2, 0x204
	v_cndmask_b32_e32 v2, 1.0, v2, vcc
	v_cmp_neq_f32_e32 vcc, 0, v2
	v_cndmask_b32_e32 v1, 1.0, v1, vcc
	v_frexp_mant_f32_e64 v3, |v1|
	v_cmp_gt_f32_e32 vcc, s0, v3
	v_cndmask_b32_e64 v4, 1.0, 2.0, vcc
	v_mul_f32_e32 v3, v3, v4
	v_add_f32_e32 v4, 1.0, v3
	v_rcp_f32_e32 v5, v4
	v_add_f32_e32 v6, -1.0, v3
	v_add_f32_e32 v7, -1.0, v4
	v_sub_f32_e32 v3, v3, v7
	v_mul_f32_e32 v7, v6, v5
	v_mul_f32_e32 v8, v4, v7
	v_fma_f32 v4, v7, v4, -v8
	v_fmac_f32_e32 v4, v7, v3
	v_add_f32_e32 v3, v8, v4
	v_sub_f32_e32 v9, v6, v3
	v_sub_f32_e32 v8, v3, v8
	;; [unrolled: 1-line block ×5, first 2 shown]
	v_add_f32_e32 v3, v4, v3
	v_add_f32_e32 v3, v9, v3
	v_mul_f32_e32 v3, v5, v3
	v_add_f32_e32 v5, v7, v3
	v_sub_f32_e32 v4, v5, v7
	v_sub_f32_e32 v6, v3, v4
	v_mul_f32_e32 v3, v5, v5
	v_fma_f32 v4, v5, v5, -v3
	v_add_f32_e32 v7, v6, v6
	v_fmac_f32_e32 v4, v5, v7
	v_add_f32_e32 v7, v3, v4
	v_mov_b32_e32 v8, 0x3e91f4c4
	v_sub_f32_e32 v3, v7, v3
	v_fmac_f32_e32 v8, 0x3e76c4e1, v7
	v_mov_b32_e32 v9, 0x3ecccdef
	v_sub_f32_e32 v3, v4, v3
	v_mul_f32_e32 v4, v5, v7
	v_fmac_f32_e32 v9, v7, v8
	v_fma_f32 v8, v7, v5, -v4
	v_fmac_f32_e32 v8, v7, v6
	v_fmac_f32_e32 v8, v3, v5
	v_add_f32_e32 v10, v4, v8
	v_sub_f32_e32 v4, v10, v4
	v_sub_f32_e32 v8, v8, v4
	v_mul_f32_e32 v4, v7, v9
	v_fma_f32 v7, v7, v9, -v4
	v_fmac_f32_e32 v7, v3, v9
	v_add_f32_e32 v9, v4, v7
	v_sub_f32_e32 v3, v9, v4
	v_sub_f32_e32 v7, v7, v3
	v_cvt_f64_f32_e64 v[3:4], |v1|
	v_add_f32_e32 v11, 0x3f2aaaaa, v9
	v_add_f32_e32 v12, 0xbf2aaaaa, v11
	;; [unrolled: 1-line block ×3, first 2 shown]
	v_frexp_exp_i32_f64_e32 v3, v[3:4]
	v_sub_f32_e32 v9, v9, v12
	v_add_f32_e32 v4, v7, v9
	v_add_f32_e32 v7, v11, v4
	v_sub_f32_e32 v9, v11, v7
	v_add_f32_e32 v4, v4, v9
	v_mul_f32_e32 v9, v10, v7
	v_fma_f32 v11, v10, v7, -v9
	v_subbrev_co_u32_e32 v3, vcc, 0, v3, vcc
	v_cvt_f32_i32_e32 v3, v3
	v_fmac_f32_e32 v11, v10, v4
	s_mov_b32 s0, 0x3f317218
	v_fmac_f32_e32 v11, v8, v7
	v_mul_f32_e32 v4, 0x3f317218, v3
	v_fma_f32 v7, v3, s0, -v4
	v_fmac_f32_e32 v7, 0xb102e308, v3
	v_ldexp_f32 v3, v6, 1
	v_add_f32_e32 v6, v4, v7
	v_sub_f32_e32 v4, v6, v4
	v_ldexp_f32 v5, v5, 1
	v_sub_f32_e32 v4, v7, v4
	v_add_f32_e32 v7, v9, v11
	v_sub_f32_e32 v8, v7, v9
	v_add_f32_e32 v9, v5, v7
	v_sub_f32_e32 v8, v11, v8
	v_sub_f32_e32 v5, v9, v5
	;; [unrolled: 1-line block ×3, first 2 shown]
	v_add_f32_e32 v3, v3, v8
	v_add_f32_e32 v3, v3, v5
	;; [unrolled: 1-line block ×3, first 2 shown]
	v_sub_f32_e32 v7, v5, v9
	v_sub_f32_e32 v3, v3, v7
	v_add_f32_e32 v7, v6, v5
	v_sub_f32_e32 v8, v7, v6
	v_sub_f32_e32 v9, v7, v8
	;; [unrolled: 1-line block ×4, first 2 shown]
	v_add_f32_e32 v5, v5, v6
	v_add_f32_e32 v6, v4, v3
	v_sub_f32_e32 v8, v6, v4
	v_sub_f32_e32 v9, v6, v8
	;; [unrolled: 1-line block ×4, first 2 shown]
	v_add_f32_e32 v3, v3, v4
	v_add_f32_e32 v4, v6, v5
	;; [unrolled: 1-line block ×3, first 2 shown]
	v_sub_f32_e32 v6, v5, v7
	v_sub_f32_e32 v4, v4, v6
	v_add_f32_e32 v3, v3, v4
	v_add_f32_e32 v4, v5, v3
	v_sub_f32_e32 v5, v4, v5
	v_sub_f32_e32 v3, v3, v5
	v_mul_f32_e32 v5, v2, v4
	v_fma_f32 v4, v2, v4, -v5
	v_fmac_f32_e32 v4, v2, v3
	v_add_f32_e32 v3, v5, v4
	v_cmp_class_f32_e64 vcc, v5, s2
	v_sub_f32_e32 v6, v3, v5
	v_cndmask_b32_e32 v3, v3, v5, vcc
	s_mov_b32 s1, 0x42b17218
	v_mov_b32_e32 v5, 0x37000000
	v_cmp_eq_f32_e32 vcc, s1, v3
	v_cndmask_b32_e32 v5, 0, v5, vcc
	v_sub_f32_e32 v4, v4, v6
	v_sub_f32_e32 v6, v3, v5
	s_mov_b32 s3, 0x3fb8aa3b
	v_mul_f32_e32 v7, 0x3fb8aa3b, v6
	v_fma_f32 v8, v6, s3, -v7
	v_rndne_f32_e32 v9, v7
	v_fmac_f32_e32 v8, 0x32a5705f, v6
	v_sub_f32_e32 v7, v7, v9
	v_add_f32_e32 v7, v7, v8
	v_exp_f32_e32 v7, v7
	v_cvt_i32_f32_e32 v8, v9
	s_mov_b32 s0, 0x7f800000
	v_cmp_neq_f32_e64 vcc, |v3|, s0
	s_mov_b32 s0, 0xc2ce8ed0
	v_cndmask_b32_e32 v3, 0, v4, vcc
	v_ldexp_f32 v4, v7, v8
	v_cmp_ngt_f32_e32 vcc, s0, v6
	v_add_f32_e32 v3, v5, v3
	v_cndmask_b32_e32 v4, 0, v4, vcc
	v_mov_b32_e32 v5, 0x7f800000
	v_cmp_nlt_f32_e32 vcc, s1, v6
	v_cndmask_b32_e32 v4, v5, v4, vcc
	v_fma_f32 v3, v4, v3, v4
	v_cmp_class_f32_e64 vcc, v4, s2
	v_cndmask_b32_e32 v3, v3, v4, vcc
	v_trunc_f32_e32 v4, v2
	v_cmp_eq_f32_e32 vcc, v4, v2
	v_mul_f32_e32 v4, 0.5, v2
	v_trunc_f32_e32 v7, v4
	v_cmp_neq_f32_e64 s[0:1], v7, v4
	s_and_b64 s[0:1], vcc, s[0:1]
	v_cndmask_b32_e64 v4, 1.0, v1, s[0:1]
	s_brev_b32 s7, -2
	v_mov_b32_e32 v6, 0x7fc00000
	v_bfi_b32 v3, s7, v3, v4
	v_cndmask_b32_e32 v4, v6, v3, vcc
	v_cmp_gt_f32_e32 vcc, 0, v1
	v_cndmask_b32_e32 v3, v3, v4, vcc
	v_cmp_class_f32_e64 s[20:21], v1, s2
	v_cmp_eq_f32_e32 vcc, 0, v1
	v_cmp_gt_f32_e64 s[2:3], 0, v2
	s_xor_b64 s[2:3], s[2:3], vcc
	v_cndmask_b32_e64 v2, v5, 0, s[2:3]
	v_cndmask_b32_e64 v4, 0, v1, s[0:1]
	v_bfi_b32 v2, s7, v2, v4
	s_or_b64 vcc, vcc, s[20:21]
	v_cndmask_b32_e32 v2, v3, v2, vcc
	v_cmp_o_f32_e32 vcc, v1, v1
	v_cndmask_b32_e32 v4, v6, v2, vcc
.LBB15_8:
	s_load_dwordx8 s[20:27], s[4:5], 0x0
	s_waitcnt lgkmcnt(0)
	s_cmp_lg_u64 s[24:25], 0
	s_cselect_b64 s[2:3], -1, 0
	s_cmp_eq_u64 s[24:25], 0
	s_cbranch_scc1 .LBB15_12
; %bb.9:
	s_lshl_b64 s[0:1], s[10:11], 2
	s_add_u32 s0, s24, s0
	s_addc_u32 s1, s25, s1
	s_load_dword s19, s[0:1], 0x0
	s_branch .LBB15_13
.LBB15_10:
                                        ; implicit-def: $sgpr28_sgpr29
	s_branch .LBB15_2
.LBB15_11:
                                        ; implicit-def: $sgpr30_sgpr31
	s_branch .LBB15_5
.LBB15_12:
	s_mov_b32 s19, 0xff800000
.LBB15_13:
	s_mul_i32 s0, s35, s8
	s_add_i32 s0, s0, s10
	s_mul_i32 s0, s0, s34
	s_add_i32 s4, s0, s6
	s_ashr_i32 s5, s4, 31
	s_lshl_b64 s[0:1], s[4:5], 13
	s_add_u32 s0, s20, s0
	s_addc_u32 s1, s21, s1
	v_lshlrev_b32_e32 v1, 2, v0
	global_load_dword v3, v1, s[0:1]
	s_mul_i32 s7, s13, s6
	s_mul_hi_u32 s8, s12, s6
	s_add_i32 s8, s8, s7
	s_mul_i32 s7, s28, s15
	s_mul_hi_u32 s9, s28, s14
	s_add_i32 s7, s9, s7
	s_mul_i32 s9, s29, s14
	s_mul_i32 s6, s12, s6
	s_add_i32 s7, s7, s9
	s_mul_i32 s9, s28, s14
	s_add_u32 s6, s9, s6
	s_addc_u32 s7, s7, s8
	s_mul_i32 s8, s30, s17
	s_mul_hi_u32 s9, s30, s16
	s_add_i32 s8, s9, s8
	s_mul_i32 s9, s31, s16
	s_add_i32 s8, s8, s9
	s_mul_i32 s9, s30, s16
	s_add_u32 s6, s6, s9
	s_addc_u32 s7, s7, s8
	s_lshr_b64 s[6:7], s[6:7], 2
	s_cmp_lg_u64 s[22:23], 0
	s_cselect_b64 s[8:9], -1, 0
	s_and_b64 vcc, s[8:9], exec
	s_cselect_b32 s7, s7, 0
	s_cselect_b32 s6, s6, 0
	s_lshl_b64 s[6:7], s[6:7], 2
	s_add_u32 s6, s22, s6
	s_addc_u32 s7, s23, s7
	v_mov_b32_e32 v9, 0
	v_mov_b32_e32 v5, 0
	s_cbranch_vccz .LBB15_15
; %bb.14:
	global_load_dword v2, v1, s[6:7]
	s_waitcnt vmcnt(0)
	v_mul_f32_e32 v5, v4, v2
.LBB15_15:
	v_or_b32_e32 v2, 0x400, v0
	v_lshlrev_b32_e32 v2, 2, v2
	global_load_dword v6, v2, s[0:1]
	s_waitcnt vmcnt(1)
	v_fmac_f32_e32 v5, s18, v3
	v_lshl_add_u32 v3, v0, 2, 0
	s_andn2_b64 vcc, exec, s[8:9]
	ds_write_b32 v3, v5 offset:128
	s_cbranch_vccnz .LBB15_17
; %bb.16:
	global_load_dword v7, v2, s[6:7]
	s_waitcnt vmcnt(0)
	v_mul_f32_e32 v9, v4, v7
.LBB15_17:
	v_mbcnt_lo_u32_b32 v4, -1, 0
	v_mbcnt_hi_u32_b32 v8, -1, v4
	v_and_b32_e32 v4, 0x60, v8
	v_add_u32_e32 v11, 32, v4
	v_xor_b32_e32 v4, 16, v8
	v_cmp_lt_i32_e32 vcc, v4, v11
	s_waitcnt vmcnt(0)
	v_fmac_f32_e32 v9, s18, v6
	v_cndmask_b32_e32 v4, v8, v4, vcc
	s_waitcnt lgkmcnt(0)
	v_max3_f32 v5, s19, v5, v9
	v_lshlrev_b32_e32 v4, 2, v4
	ds_bpermute_b32 v6, v4, v5
	ds_write_b32 v3, v9 offset:4224
	v_and_b32_e32 v9, 31, v0
	v_lshrrev_b32_e32 v0, 3, v0
	s_waitcnt lgkmcnt(1)
	v_max_f32_e32 v6, v6, v6
	v_max_f32_e32 v6, v5, v6
	v_xor_b32_e32 v5, 8, v8
	v_cmp_lt_i32_e32 vcc, v5, v11
	v_cndmask_b32_e32 v5, v8, v5, vcc
	v_lshlrev_b32_e32 v5, 2, v5
	ds_bpermute_b32 v7, v5, v6
	s_waitcnt lgkmcnt(0)
	v_max_f32_e32 v7, v7, v7
	v_max_f32_e32 v7, v6, v7
	v_xor_b32_e32 v6, 4, v8
	v_cmp_lt_i32_e32 vcc, v6, v11
	v_cndmask_b32_e32 v6, v8, v6, vcc
	v_lshlrev_b32_e32 v6, 2, v6
	ds_bpermute_b32 v10, v6, v7
	;; [unrolled: 8-line block ×4, first 2 shown]
	v_cmp_eq_u32_e32 vcc, 0, v9
	s_and_saveexec_b64 s[0:1], vcc
	s_xor_b64 s[0:1], exec, s[0:1]
	s_cbranch_execz .LBB15_19
; %bb.18:
	s_waitcnt lgkmcnt(0)
	v_max_f32_e32 v11, v11, v11
	v_max_f32_e32 v10, v10, v10
	;; [unrolled: 1-line block ×3, first 2 shown]
	v_add_u32_e32 v11, 0, v0
	ds_write_b32 v11, v10
.LBB15_19:
	s_or_b64 exec, exec, s[0:1]
	v_lshl_add_u32 v9, v9, 2, 0
	s_waitcnt lgkmcnt(0)
	s_barrier
	ds_read_b32 v10, v9
	v_add_u32_e32 v14, 0x80, v3
	s_mov_b32 s0, 0x3fb8aa3b
	s_mov_b32 s6, 0xc2ce8ed0
	;; [unrolled: 1-line block ×3, first 2 shown]
	s_waitcnt lgkmcnt(0)
	ds_bpermute_b32 v11, v4, v10
	v_max_f32_e32 v10, v10, v10
	s_waitcnt lgkmcnt(0)
	v_max_f32_e32 v11, v11, v11
	v_max_f32_e32 v10, v10, v11
	ds_bpermute_b32 v11, v5, v10
	s_waitcnt lgkmcnt(0)
	v_max_f32_e32 v11, v11, v11
	v_max_f32_e32 v10, v10, v11
	ds_bpermute_b32 v11, v6, v10
	;; [unrolled: 4-line block ×4, first 2 shown]
	ds_read2st64_b32 v[11:12], v14 offset1:16
	s_waitcnt lgkmcnt(1)
	v_max_f32_e32 v13, v13, v13
	v_max_f32_e32 v10, v10, v13
	s_waitcnt lgkmcnt(0)
	v_sub_f32_e32 v11, v11, v10
	v_sub_f32_e32 v12, v12, v10
	v_mul_f32_e32 v13, 0x3fb8aa3b, v11
	v_mul_f32_e32 v15, 0x3fb8aa3b, v12
	v_fma_f32 v16, v11, s0, -v13
	v_rndne_f32_e32 v17, v13
	v_fma_f32 v18, v12, s0, -v15
	v_rndne_f32_e32 v19, v15
	v_fmac_f32_e32 v16, 0x32a5705f, v11
	v_sub_f32_e32 v13, v13, v17
	v_fmac_f32_e32 v18, 0x32a5705f, v12
	v_sub_f32_e32 v15, v15, v19
	v_add_f32_e32 v13, v13, v16
	v_cvt_i32_f32_e32 v17, v17
	v_add_f32_e32 v15, v15, v18
	v_exp_f32_e32 v13, v13
	v_cvt_i32_f32_e32 v19, v19
	v_exp_f32_e32 v15, v15
	v_cmp_ngt_f32_e64 s[0:1], s6, v11
	v_ldexp_f32 v13, v13, v17
	v_cndmask_b32_e64 v13, 0, v13, s[0:1]
	v_ldexp_f32 v15, v15, v19
	v_cmp_ngt_f32_e64 s[0:1], s6, v12
	v_mov_b32_e32 v16, 0x7f800000
	v_cndmask_b32_e64 v15, 0, v15, s[0:1]
	v_cmp_nlt_f32_e64 s[0:1], s7, v11
	v_cndmask_b32_e64 v13, v16, v13, s[0:1]
	v_cmp_nlt_f32_e64 s[0:1], s7, v12
	v_cndmask_b32_e64 v15, v16, v15, s[0:1]
	v_add_f32_e32 v11, v13, v15
	ds_bpermute_b32 v12, v4, v11
	ds_write2st64_b32 v14, v13, v15 offset1:16
	s_waitcnt lgkmcnt(1)
	v_add_f32_e32 v11, v11, v12
	ds_bpermute_b32 v12, v5, v11
	s_waitcnt lgkmcnt(0)
	v_add_f32_e32 v11, v11, v12
	ds_bpermute_b32 v12, v6, v11
	;; [unrolled: 3-line block ×4, first 2 shown]
	s_and_saveexec_b64 s[0:1], vcc
	s_cbranch_execz .LBB15_21
; %bb.20:
	s_waitcnt lgkmcnt(0)
	v_add_f32_e32 v11, v11, v12
	v_add_u32_e32 v0, 0, v0
	ds_write_b32 v0, v11
.LBB15_21:
	s_or_b64 exec, exec, s[0:1]
	s_waitcnt lgkmcnt(0)
	s_barrier
	ds_read_b32 v0, v9
	s_lshl_b64 s[0:1], s[4:5], 11
	s_andn2_b64 vcc, exec, s[2:3]
	s_waitcnt lgkmcnt(0)
	ds_bpermute_b32 v4, v4, v0
	s_waitcnt lgkmcnt(0)
	v_add_f32_e32 v0, v0, v4
	ds_bpermute_b32 v4, v5, v0
	s_waitcnt lgkmcnt(0)
	v_add_f32_e32 v0, v0, v4
	;; [unrolled: 3-line block ×5, first 2 shown]
	s_cbranch_vccnz .LBB15_23
; %bb.22:
	s_lshl_b64 s[2:3], s[10:11], 2
	s_add_u32 s2, s24, s2
	s_addc_u32 s3, s25, s3
	s_load_dword s2, s[2:3], 0x0
	s_mov_b32 s3, 0x3fb8aa3b
	s_waitcnt lgkmcnt(0)
	v_sub_f32_e32 v4, s2, v10
	v_mul_f32_e32 v5, 0x3fb8aa3b, v4
	v_fma_f32 v6, v4, s3, -v5
	v_rndne_f32_e32 v7, v5
	v_fmac_f32_e32 v6, 0x32a5705f, v4
	v_sub_f32_e32 v5, v5, v7
	v_add_f32_e32 v5, v5, v6
	v_cvt_i32_f32_e32 v7, v7
	v_exp_f32_e32 v5, v5
	s_mov_b32 s2, 0xc2ce8ed0
	s_mov_b32 s3, 0x42b17218
	v_cmp_ngt_f32_e32 vcc, s2, v4
	v_ldexp_f32 v5, v5, v7
	v_cndmask_b32_e32 v5, 0, v5, vcc
	v_mov_b32_e32 v6, 0x7f800000
	v_cmp_nlt_f32_e32 vcc, s3, v4
	v_cndmask_b32_e32 v4, v6, v5, vcc
	v_add_f32_e32 v0, v0, v4
.LBB15_23:
	v_div_scale_f32 v4, s[2:3], v0, v0, 1.0
	v_div_scale_f32 v5, vcc, 1.0, v0, 1.0
	v_add_u32_e32 v3, 0x80, v3
	s_lshl_b64 s[0:1], s[0:1], 2
	s_add_u32 s0, s26, s0
	s_addc_u32 s1, s27, s1
	v_rcp_f32_e32 v6, v4
	v_fma_f32 v7, -v4, v6, 1.0
	v_fmac_f32_e32 v6, v7, v6
	v_mul_f32_e32 v7, v5, v6
	v_fma_f32 v8, -v4, v7, v5
	v_fmac_f32_e32 v7, v8, v6
	v_fma_f32 v4, -v4, v7, v5
	v_div_fmas_f32 v5, v4, v6, v7
	ds_read2st64_b32 v[3:4], v3 offset1:16
	v_div_fixup_f32 v0, v5, v0, 1.0
	s_waitcnt lgkmcnt(0)
	v_mul_f32_e32 v3, v0, v3
	v_mul_f32_e32 v0, v0, v4
	global_store_dword v1, v3, s[0:1]
	global_store_dword v2, v0, s[0:1]
	s_endpgm
	.section	.rodata,"a",@progbits
	.p2align	6, 0x0
	.amdhsa_kernel _ZL12soft_max_f32ILb1ELi2048ELi1024EfEvPKfPKT2_S1_Pf15soft_max_params
		.amdhsa_group_segment_fixed_size 0
		.amdhsa_private_segment_fixed_size 0
		.amdhsa_kernarg_size 416
		.amdhsa_user_sgpr_count 6
		.amdhsa_user_sgpr_private_segment_buffer 1
		.amdhsa_user_sgpr_dispatch_ptr 0
		.amdhsa_user_sgpr_queue_ptr 0
		.amdhsa_user_sgpr_kernarg_segment_ptr 1
		.amdhsa_user_sgpr_dispatch_id 0
		.amdhsa_user_sgpr_flat_scratch_init 0
		.amdhsa_user_sgpr_private_segment_size 0
		.amdhsa_uses_dynamic_stack 0
		.amdhsa_system_sgpr_private_segment_wavefront_offset 0
		.amdhsa_system_sgpr_workgroup_id_x 1
		.amdhsa_system_sgpr_workgroup_id_y 1
		.amdhsa_system_sgpr_workgroup_id_z 1
		.amdhsa_system_sgpr_workgroup_info 0
		.amdhsa_system_vgpr_workitem_id 0
		.amdhsa_next_free_vgpr 20
		.amdhsa_next_free_sgpr 36
		.amdhsa_reserve_vcc 1
		.amdhsa_reserve_flat_scratch 0
		.amdhsa_float_round_mode_32 0
		.amdhsa_float_round_mode_16_64 0
		.amdhsa_float_denorm_mode_32 3
		.amdhsa_float_denorm_mode_16_64 3
		.amdhsa_dx10_clamp 1
		.amdhsa_ieee_mode 1
		.amdhsa_fp16_overflow 0
		.amdhsa_exception_fp_ieee_invalid_op 0
		.amdhsa_exception_fp_denorm_src 0
		.amdhsa_exception_fp_ieee_div_zero 0
		.amdhsa_exception_fp_ieee_overflow 0
		.amdhsa_exception_fp_ieee_underflow 0
		.amdhsa_exception_fp_ieee_inexact 0
		.amdhsa_exception_int_div_zero 0
	.end_amdhsa_kernel
	.section	.text._ZL12soft_max_f32ILb1ELi2048ELi1024EfEvPKfPKT2_S1_Pf15soft_max_params,"axG",@progbits,_ZL12soft_max_f32ILb1ELi2048ELi1024EfEvPKfPKT2_S1_Pf15soft_max_params,comdat
.Lfunc_end15:
	.size	_ZL12soft_max_f32ILb1ELi2048ELi1024EfEvPKfPKT2_S1_Pf15soft_max_params, .Lfunc_end15-_ZL12soft_max_f32ILb1ELi2048ELi1024EfEvPKfPKT2_S1_Pf15soft_max_params
                                        ; -- End function
	.set _ZL12soft_max_f32ILb1ELi2048ELi1024EfEvPKfPKT2_S1_Pf15soft_max_params.num_vgpr, 20
	.set _ZL12soft_max_f32ILb1ELi2048ELi1024EfEvPKfPKT2_S1_Pf15soft_max_params.num_agpr, 0
	.set _ZL12soft_max_f32ILb1ELi2048ELi1024EfEvPKfPKT2_S1_Pf15soft_max_params.numbered_sgpr, 36
	.set _ZL12soft_max_f32ILb1ELi2048ELi1024EfEvPKfPKT2_S1_Pf15soft_max_params.num_named_barrier, 0
	.set _ZL12soft_max_f32ILb1ELi2048ELi1024EfEvPKfPKT2_S1_Pf15soft_max_params.private_seg_size, 0
	.set _ZL12soft_max_f32ILb1ELi2048ELi1024EfEvPKfPKT2_S1_Pf15soft_max_params.uses_vcc, 1
	.set _ZL12soft_max_f32ILb1ELi2048ELi1024EfEvPKfPKT2_S1_Pf15soft_max_params.uses_flat_scratch, 0
	.set _ZL12soft_max_f32ILb1ELi2048ELi1024EfEvPKfPKT2_S1_Pf15soft_max_params.has_dyn_sized_stack, 0
	.set _ZL12soft_max_f32ILb1ELi2048ELi1024EfEvPKfPKT2_S1_Pf15soft_max_params.has_recursion, 0
	.set _ZL12soft_max_f32ILb1ELi2048ELi1024EfEvPKfPKT2_S1_Pf15soft_max_params.has_indirect_call, 0
	.section	.AMDGPU.csdata,"",@progbits
; Kernel info:
; codeLenInByte = 3728
; TotalNumSgprs: 40
; NumVgprs: 20
; ScratchSize: 0
; MemoryBound: 0
; FloatMode: 240
; IeeeMode: 1
; LDSByteSize: 0 bytes/workgroup (compile time only)
; SGPRBlocks: 4
; VGPRBlocks: 4
; NumSGPRsForWavesPerEU: 40
; NumVGPRsForWavesPerEU: 20
; Occupancy: 10
; WaveLimiterHint : 1
; COMPUTE_PGM_RSRC2:SCRATCH_EN: 0
; COMPUTE_PGM_RSRC2:USER_SGPR: 6
; COMPUTE_PGM_RSRC2:TRAP_HANDLER: 0
; COMPUTE_PGM_RSRC2:TGID_X_EN: 1
; COMPUTE_PGM_RSRC2:TGID_Y_EN: 1
; COMPUTE_PGM_RSRC2:TGID_Z_EN: 1
; COMPUTE_PGM_RSRC2:TIDIG_COMP_CNT: 0
	.section	.text._ZL12soft_max_f32ILb1ELi1024ELi1024EfEvPKfPKT2_S1_Pf15soft_max_params,"axG",@progbits,_ZL12soft_max_f32ILb1ELi1024ELi1024EfEvPKfPKT2_S1_Pf15soft_max_params,comdat
	.globl	_ZL12soft_max_f32ILb1ELi1024ELi1024EfEvPKfPKT2_S1_Pf15soft_max_params ; -- Begin function _ZL12soft_max_f32ILb1ELi1024ELi1024EfEvPKfPKT2_S1_Pf15soft_max_params
	.p2align	8
	.type	_ZL12soft_max_f32ILb1ELi1024ELi1024EfEvPKfPKT2_S1_Pf15soft_max_params,@function
_ZL12soft_max_f32ILb1ELi1024ELi1024EfEvPKfPKT2_S1_Pf15soft_max_params: ; @_ZL12soft_max_f32ILb1ELi1024ELi1024EfEvPKfPKT2_S1_Pf15soft_max_params
; %bb.0:
	s_load_dwordx8 s[12:19], s[4:5], 0x68
	s_load_dwordx2 s[0:1], s[4:5], 0x88
	s_mov_b32 s11, 0
	s_mov_b32 s2, s11
	;; [unrolled: 1-line block ×3, first 2 shown]
	s_waitcnt lgkmcnt(0)
	s_mov_b32 s3, s19
	s_cmp_lg_u64 s[2:3], 0
	s_cbranch_scc0 .LBB16_10
; %bb.1:
	s_ashr_i32 s2, s19, 31
	s_add_u32 s20, s18, s2
	s_mov_b32 s3, s2
	s_addc_u32 s21, s19, s2
	s_xor_b64 s[20:21], s[20:21], s[2:3]
	v_cvt_f32_u32_e32 v1, s20
	v_cvt_f32_u32_e32 v2, s21
	s_sub_u32 s7, 0, s20
	s_subb_u32 s9, 0, s21
	v_madmk_f32 v1, v2, 0x4f800000, v1
	v_rcp_f32_e32 v1, v1
	v_mul_f32_e32 v1, 0x5f7ffffc, v1
	v_mul_f32_e32 v2, 0x2f800000, v1
	v_trunc_f32_e32 v2, v2
	v_madmk_f32 v1, v2, 0xcf800000, v1
	v_cvt_u32_f32_e32 v2, v2
	v_cvt_u32_f32_e32 v1, v1
	v_readfirstlane_b32 s19, v2
	v_readfirstlane_b32 s22, v1
	s_mul_i32 s23, s7, s19
	s_mul_hi_u32 s25, s7, s22
	s_mul_i32 s24, s9, s22
	s_add_i32 s23, s25, s23
	s_add_i32 s23, s23, s24
	s_mul_i32 s26, s7, s22
	s_mul_i32 s25, s22, s23
	s_mul_hi_u32 s27, s22, s26
	s_mul_hi_u32 s24, s22, s23
	s_add_u32 s25, s27, s25
	s_addc_u32 s24, 0, s24
	s_mul_hi_u32 s28, s19, s26
	s_mul_i32 s26, s19, s26
	s_add_u32 s25, s25, s26
	s_mul_hi_u32 s27, s19, s23
	s_addc_u32 s24, s24, s28
	s_addc_u32 s25, s27, 0
	s_mul_i32 s23, s19, s23
	s_add_u32 s23, s24, s23
	s_addc_u32 s24, 0, s25
	s_add_u32 s25, s22, s23
	s_cselect_b64 s[22:23], -1, 0
	s_cmp_lg_u64 s[22:23], 0
	s_addc_u32 s19, s19, s24
	s_mul_i32 s22, s7, s19
	s_mul_hi_u32 s23, s7, s25
	s_add_i32 s22, s23, s22
	s_mul_i32 s9, s9, s25
	s_add_i32 s22, s22, s9
	s_mul_i32 s7, s7, s25
	s_mul_hi_u32 s23, s19, s7
	s_mul_i32 s24, s19, s7
	s_mul_i32 s27, s25, s22
	s_mul_hi_u32 s7, s25, s7
	s_mul_hi_u32 s26, s25, s22
	s_add_u32 s7, s7, s27
	s_addc_u32 s26, 0, s26
	s_add_u32 s7, s7, s24
	s_mul_hi_u32 s9, s19, s22
	s_addc_u32 s7, s26, s23
	s_addc_u32 s9, s9, 0
	s_mul_i32 s22, s19, s22
	s_add_u32 s7, s7, s22
	s_addc_u32 s9, 0, s9
	s_add_u32 s7, s25, s7
	s_cselect_b64 s[22:23], -1, 0
	s_cmp_lg_u64 s[22:23], 0
	s_addc_u32 s9, s19, s9
	s_add_u32 s22, s10, 0
	s_addc_u32 s23, 0, 0
	s_xor_b64 s[22:23], s[22:23], 0
	s_mul_i32 s24, s22, s9
	s_mul_hi_u32 s25, s22, s7
	s_mul_hi_u32 s19, s22, s9
	s_add_u32 s24, s25, s24
	s_addc_u32 s19, 0, s19
	s_mul_hi_u32 s26, s23, s7
	s_mul_i32 s7, s23, s7
	s_add_u32 s7, s24, s7
	s_mul_hi_u32 s25, s23, s9
	s_addc_u32 s7, s19, s26
	s_addc_u32 s19, s25, 0
	s_mul_i32 s9, s23, s9
	s_add_u32 s7, s7, s9
	s_addc_u32 s9, 0, s19
	s_mul_i32 s9, s20, s9
	s_mul_hi_u32 s19, s20, s7
	s_add_i32 s9, s19, s9
	s_mul_i32 s19, s21, s7
	s_add_i32 s9, s9, s19
	s_sub_i32 s19, s23, s9
	s_mul_i32 s7, s20, s7
	s_sub_u32 s7, s22, s7
	s_cselect_b64 s[24:25], -1, 0
	s_cmp_lg_u64 s[24:25], 0
	s_subb_u32 s19, s19, s21
	s_sub_u32 s22, s7, s20
	s_cselect_b64 s[26:27], -1, 0
	s_cmp_lg_u64 s[26:27], 0
	s_subb_u32 s28, s19, 0
	s_cmp_ge_u32 s28, s21
	s_cselect_b32 s29, -1, 0
	s_cmp_ge_u32 s22, s20
	s_cselect_b32 s30, -1, 0
	s_cmp_eq_u32 s28, s21
	s_cselect_b32 s29, s30, s29
	s_cmp_lg_u64 s[26:27], 0
	s_subb_u32 s19, s19, s21
	s_sub_u32 s30, s22, s20
	s_cselect_b64 s[26:27], -1, 0
	s_cmp_lg_u64 s[26:27], 0
	s_subb_u32 s19, s19, 0
	s_cmp_lg_u32 s29, 0
	s_cselect_b32 s22, s30, s22
	s_cselect_b32 s19, s19, s28
	s_cmp_lg_u64 s[24:25], 0
	s_subb_u32 s9, s23, s9
	s_cmp_ge_u32 s9, s21
	s_cselect_b32 s23, -1, 0
	s_cmp_ge_u32 s7, s20
	s_cselect_b32 s20, -1, 0
	s_cmp_eq_u32 s9, s21
	s_cselect_b32 s20, s20, s23
	s_cmp_lg_u32 s20, 0
	s_cselect_b32 s21, s19, s9
	s_cselect_b32 s20, s22, s7
	s_xor_b64 s[20:21], s[20:21], 0
	s_sub_u32 s28, s20, 0
	s_subb_u32 s29, s21, 0
	s_cbranch_execnz .LBB16_3
.LBB16_2:
	v_cvt_f32_u32_e32 v1, s18
	s_sub_i32 s2, 0, s18
	s_mov_b32 s29, 0
	v_rcp_iflag_f32_e32 v1, v1
	v_mul_f32_e32 v1, 0x4f7ffffe, v1
	v_cvt_u32_f32_e32 v1, v1
	v_readfirstlane_b32 s3, v1
	s_mul_i32 s2, s2, s3
	s_mul_hi_u32 s2, s3, s2
	s_add_i32 s3, s3, s2
	s_mul_hi_u32 s2, s10, s3
	s_mul_i32 s2, s2, s18
	s_sub_i32 s2, s10, s2
	s_sub_i32 s3, s2, s18
	s_cmp_ge_u32 s2, s18
	s_cselect_b32 s2, s3, s2
	s_sub_i32 s3, s2, s18
	s_cmp_ge_u32 s2, s18
	s_cselect_b32 s28, s3, s2
.LBB16_3:
	s_load_dwordx2 s[18:19], s[4:5], 0x90
	s_mov_b32 s2, 0
	s_mov_b32 s3, s1
	s_cmp_lg_u64 s[2:3], 0
	s_cbranch_scc0 .LBB16_11
; %bb.4:
	s_ashr_i32 s2, s1, 31
	s_add_u32 s20, s0, s2
	s_mov_b32 s3, s2
	s_addc_u32 s21, s1, s2
	s_xor_b64 s[20:21], s[20:21], s[2:3]
	v_cvt_f32_u32_e32 v1, s20
	v_cvt_f32_u32_e32 v2, s21
	s_sub_u32 s1, 0, s20
	s_subb_u32 s7, 0, s21
	v_madmk_f32 v1, v2, 0x4f800000, v1
	v_rcp_f32_e32 v1, v1
	v_mul_f32_e32 v1, 0x5f7ffffc, v1
	v_mul_f32_e32 v2, 0x2f800000, v1
	v_trunc_f32_e32 v2, v2
	v_madmk_f32 v1, v2, 0xcf800000, v1
	v_cvt_u32_f32_e32 v2, v2
	v_cvt_u32_f32_e32 v1, v1
	v_readfirstlane_b32 s9, v2
	v_readfirstlane_b32 s22, v1
	s_mul_i32 s23, s1, s9
	s_mul_hi_u32 s25, s1, s22
	s_mul_i32 s24, s7, s22
	s_add_i32 s23, s25, s23
	s_add_i32 s23, s23, s24
	s_mul_i32 s26, s1, s22
	s_mul_i32 s25, s22, s23
	s_mul_hi_u32 s27, s22, s26
	s_mul_hi_u32 s24, s22, s23
	s_add_u32 s25, s27, s25
	s_addc_u32 s24, 0, s24
	s_mul_hi_u32 s30, s9, s26
	s_mul_i32 s26, s9, s26
	s_add_u32 s25, s25, s26
	s_mul_hi_u32 s27, s9, s23
	s_addc_u32 s24, s24, s30
	s_addc_u32 s25, s27, 0
	s_mul_i32 s23, s9, s23
	s_add_u32 s23, s24, s23
	s_addc_u32 s24, 0, s25
	s_add_u32 s25, s22, s23
	s_cselect_b64 s[22:23], -1, 0
	s_cmp_lg_u64 s[22:23], 0
	s_addc_u32 s9, s9, s24
	s_mul_i32 s22, s1, s9
	s_mul_hi_u32 s23, s1, s25
	s_add_i32 s22, s23, s22
	s_mul_i32 s7, s7, s25
	s_add_i32 s22, s22, s7
	s_mul_i32 s1, s1, s25
	s_mul_hi_u32 s23, s9, s1
	s_mul_i32 s24, s9, s1
	s_mul_i32 s27, s25, s22
	s_mul_hi_u32 s1, s25, s1
	s_mul_hi_u32 s26, s25, s22
	s_add_u32 s1, s1, s27
	s_addc_u32 s26, 0, s26
	s_add_u32 s1, s1, s24
	s_mul_hi_u32 s7, s9, s22
	s_addc_u32 s1, s26, s23
	s_addc_u32 s7, s7, 0
	s_mul_i32 s22, s9, s22
	s_add_u32 s1, s1, s22
	s_addc_u32 s7, 0, s7
	s_add_u32 s1, s25, s1
	s_cselect_b64 s[22:23], -1, 0
	s_cmp_lg_u64 s[22:23], 0
	s_addc_u32 s7, s9, s7
	s_add_u32 s22, s8, 0
	s_addc_u32 s23, 0, 0
	s_xor_b64 s[22:23], s[22:23], 0
	s_mul_i32 s24, s22, s7
	s_mul_hi_u32 s25, s22, s1
	s_mul_hi_u32 s9, s22, s7
	s_add_u32 s24, s25, s24
	s_addc_u32 s9, 0, s9
	s_mul_hi_u32 s26, s23, s1
	s_mul_i32 s1, s23, s1
	s_add_u32 s1, s24, s1
	s_mul_hi_u32 s25, s23, s7
	s_addc_u32 s1, s9, s26
	s_addc_u32 s9, s25, 0
	s_mul_i32 s7, s23, s7
	s_add_u32 s1, s1, s7
	s_addc_u32 s7, 0, s9
	s_mul_i32 s7, s20, s7
	s_mul_hi_u32 s9, s20, s1
	s_add_i32 s7, s9, s7
	s_mul_i32 s9, s21, s1
	s_add_i32 s7, s7, s9
	s_sub_i32 s9, s23, s7
	s_mul_i32 s1, s20, s1
	s_sub_u32 s1, s22, s1
	s_cselect_b64 s[24:25], -1, 0
	s_cmp_lg_u64 s[24:25], 0
	s_subb_u32 s9, s9, s21
	s_sub_u32 s22, s1, s20
	s_cselect_b64 s[26:27], -1, 0
	s_cmp_lg_u64 s[26:27], 0
	s_subb_u32 s30, s9, 0
	s_cmp_ge_u32 s30, s21
	s_cselect_b32 s31, -1, 0
	s_cmp_ge_u32 s22, s20
	s_cselect_b32 s33, -1, 0
	s_cmp_eq_u32 s30, s21
	s_cselect_b32 s31, s33, s31
	s_cmp_lg_u64 s[26:27], 0
	s_subb_u32 s9, s9, s21
	s_sub_u32 s33, s22, s20
	s_cselect_b64 s[26:27], -1, 0
	s_cmp_lg_u64 s[26:27], 0
	s_subb_u32 s9, s9, 0
	s_cmp_lg_u32 s31, 0
	s_cselect_b32 s22, s33, s22
	s_cselect_b32 s9, s9, s30
	s_cmp_lg_u64 s[24:25], 0
	s_subb_u32 s7, s23, s7
	s_cmp_ge_u32 s7, s21
	s_cselect_b32 s23, -1, 0
	s_cmp_ge_u32 s1, s20
	s_cselect_b32 s20, -1, 0
	s_cmp_eq_u32 s7, s21
	s_cselect_b32 s20, s20, s23
	s_cmp_lg_u32 s20, 0
	s_cselect_b32 s21, s9, s7
	s_cselect_b32 s20, s22, s1
	s_xor_b64 s[20:21], s[20:21], 0
	s_sub_u32 s30, s20, 0
	s_subb_u32 s31, s21, 0
	s_cbranch_execnz .LBB16_6
.LBB16_5:
	v_cvt_f32_u32_e32 v1, s0
	s_sub_i32 s1, 0, s0
	s_mov_b32 s31, 0
	v_rcp_iflag_f32_e32 v1, v1
	v_mul_f32_e32 v1, 0x4f7ffffe, v1
	v_cvt_u32_f32_e32 v1, v1
	v_readfirstlane_b32 s2, v1
	s_mul_i32 s1, s1, s2
	s_mul_hi_u32 s1, s2, s1
	s_add_i32 s2, s2, s1
	s_mul_hi_u32 s1, s8, s2
	s_mul_i32 s1, s1, s0
	s_sub_i32 s1, s8, s1
	s_sub_i32 s2, s1, s0
	s_cmp_ge_u32 s1, s0
	s_cselect_b32 s1, s2, s1
	s_sub_i32 s2, s1, s0
	s_cmp_ge_u32 s1, s0
	s_cselect_b32 s30, s2, s1
.LBB16_6:
	s_load_dwordx2 s[34:35], s[4:5], 0xa0
	s_waitcnt lgkmcnt(0)
	v_cmp_le_f32_e64 s[0:1], s19, 0
	s_and_b64 vcc, exec, s[0:1]
	v_mov_b32_e32 v2, 1.0
	s_cbranch_vccnz .LBB16_8
; %bb.7:
	s_load_dword s2, s[4:5], 0x28
	s_load_dwordx2 s[0:1], s[4:5], 0x98
	s_add_i32 s3, s10, 1
	s_waitcnt lgkmcnt(0)
	s_sub_i32 s7, s10, s2
	v_mov_b32_e32 v2, s0
	s_lshl_b32 s0, s7, 1
	s_or_b32 s7, s0, 1
	s_cmp_lt_u32 s10, s2
	s_cselect_b64 vcc, -1, 0
	v_mov_b32_e32 v1, s1
	s_and_b64 s[0:1], vcc, exec
	s_cselect_b32 s0, s3, s7
	v_cndmask_b32_e32 v1, v1, v2, vcc
	v_cvt_f32_i32_e32 v2, s0
	v_cmp_neq_f32_e32 vcc, 1.0, v1
	s_mov_b32 s0, 0x3f2aaaab
	s_movk_i32 s2, 0x204
	v_cndmask_b32_e32 v2, 1.0, v2, vcc
	v_cmp_neq_f32_e32 vcc, 0, v2
	v_cndmask_b32_e32 v1, 1.0, v1, vcc
	v_frexp_mant_f32_e64 v3, |v1|
	v_cmp_gt_f32_e32 vcc, s0, v3
	v_cndmask_b32_e64 v4, 1.0, 2.0, vcc
	v_mul_f32_e32 v3, v3, v4
	v_add_f32_e32 v4, 1.0, v3
	v_rcp_f32_e32 v5, v4
	v_add_f32_e32 v6, -1.0, v3
	v_add_f32_e32 v7, -1.0, v4
	v_sub_f32_e32 v3, v3, v7
	v_mul_f32_e32 v7, v6, v5
	v_mul_f32_e32 v8, v4, v7
	v_fma_f32 v4, v7, v4, -v8
	v_fmac_f32_e32 v4, v7, v3
	v_add_f32_e32 v3, v8, v4
	v_sub_f32_e32 v9, v6, v3
	v_sub_f32_e32 v8, v3, v8
	;; [unrolled: 1-line block ×5, first 2 shown]
	v_add_f32_e32 v3, v4, v3
	v_add_f32_e32 v3, v9, v3
	v_mul_f32_e32 v3, v5, v3
	v_add_f32_e32 v5, v7, v3
	v_sub_f32_e32 v4, v5, v7
	v_sub_f32_e32 v6, v3, v4
	v_mul_f32_e32 v3, v5, v5
	v_fma_f32 v4, v5, v5, -v3
	v_add_f32_e32 v7, v6, v6
	v_fmac_f32_e32 v4, v5, v7
	v_add_f32_e32 v7, v3, v4
	v_mov_b32_e32 v8, 0x3e91f4c4
	v_sub_f32_e32 v3, v7, v3
	v_fmac_f32_e32 v8, 0x3e76c4e1, v7
	v_mov_b32_e32 v9, 0x3ecccdef
	v_sub_f32_e32 v3, v4, v3
	v_mul_f32_e32 v4, v5, v7
	v_fmac_f32_e32 v9, v7, v8
	v_fma_f32 v8, v7, v5, -v4
	v_fmac_f32_e32 v8, v7, v6
	v_fmac_f32_e32 v8, v3, v5
	v_add_f32_e32 v10, v4, v8
	v_sub_f32_e32 v4, v10, v4
	v_sub_f32_e32 v8, v8, v4
	v_mul_f32_e32 v4, v7, v9
	v_fma_f32 v7, v7, v9, -v4
	v_fmac_f32_e32 v7, v3, v9
	v_add_f32_e32 v9, v4, v7
	v_sub_f32_e32 v3, v9, v4
	v_sub_f32_e32 v7, v7, v3
	v_cvt_f64_f32_e64 v[3:4], |v1|
	v_add_f32_e32 v11, 0x3f2aaaaa, v9
	v_add_f32_e32 v12, 0xbf2aaaaa, v11
	;; [unrolled: 1-line block ×3, first 2 shown]
	v_frexp_exp_i32_f64_e32 v3, v[3:4]
	v_sub_f32_e32 v9, v9, v12
	v_add_f32_e32 v4, v7, v9
	v_add_f32_e32 v7, v11, v4
	v_sub_f32_e32 v9, v11, v7
	v_add_f32_e32 v4, v4, v9
	v_mul_f32_e32 v9, v10, v7
	v_fma_f32 v11, v10, v7, -v9
	v_subbrev_co_u32_e32 v3, vcc, 0, v3, vcc
	v_cvt_f32_i32_e32 v3, v3
	v_fmac_f32_e32 v11, v10, v4
	s_mov_b32 s0, 0x3f317218
	v_fmac_f32_e32 v11, v8, v7
	v_mul_f32_e32 v4, 0x3f317218, v3
	v_fma_f32 v7, v3, s0, -v4
	v_fmac_f32_e32 v7, 0xb102e308, v3
	v_ldexp_f32 v3, v6, 1
	v_add_f32_e32 v6, v4, v7
	v_sub_f32_e32 v4, v6, v4
	v_ldexp_f32 v5, v5, 1
	v_sub_f32_e32 v4, v7, v4
	v_add_f32_e32 v7, v9, v11
	v_sub_f32_e32 v8, v7, v9
	v_add_f32_e32 v9, v5, v7
	v_sub_f32_e32 v8, v11, v8
	v_sub_f32_e32 v5, v9, v5
	;; [unrolled: 1-line block ×3, first 2 shown]
	v_add_f32_e32 v3, v3, v8
	v_add_f32_e32 v3, v3, v5
	;; [unrolled: 1-line block ×3, first 2 shown]
	v_sub_f32_e32 v7, v5, v9
	v_sub_f32_e32 v3, v3, v7
	v_add_f32_e32 v7, v6, v5
	v_sub_f32_e32 v8, v7, v6
	v_sub_f32_e32 v9, v7, v8
	;; [unrolled: 1-line block ×4, first 2 shown]
	v_add_f32_e32 v5, v5, v6
	v_add_f32_e32 v6, v4, v3
	v_sub_f32_e32 v8, v6, v4
	v_sub_f32_e32 v9, v6, v8
	;; [unrolled: 1-line block ×4, first 2 shown]
	v_add_f32_e32 v3, v3, v4
	v_add_f32_e32 v4, v6, v5
	;; [unrolled: 1-line block ×3, first 2 shown]
	v_sub_f32_e32 v6, v5, v7
	v_sub_f32_e32 v4, v4, v6
	v_add_f32_e32 v3, v3, v4
	v_add_f32_e32 v4, v5, v3
	v_sub_f32_e32 v5, v4, v5
	v_sub_f32_e32 v3, v3, v5
	v_mul_f32_e32 v5, v2, v4
	v_fma_f32 v4, v2, v4, -v5
	v_fmac_f32_e32 v4, v2, v3
	v_add_f32_e32 v3, v5, v4
	v_cmp_class_f32_e64 vcc, v5, s2
	v_sub_f32_e32 v6, v3, v5
	v_cndmask_b32_e32 v3, v3, v5, vcc
	s_mov_b32 s1, 0x42b17218
	v_mov_b32_e32 v5, 0x37000000
	v_cmp_eq_f32_e32 vcc, s1, v3
	v_cndmask_b32_e32 v5, 0, v5, vcc
	v_sub_f32_e32 v4, v4, v6
	v_sub_f32_e32 v6, v3, v5
	s_mov_b32 s3, 0x3fb8aa3b
	v_mul_f32_e32 v7, 0x3fb8aa3b, v6
	v_fma_f32 v8, v6, s3, -v7
	v_rndne_f32_e32 v9, v7
	v_fmac_f32_e32 v8, 0x32a5705f, v6
	v_sub_f32_e32 v7, v7, v9
	v_add_f32_e32 v7, v7, v8
	v_exp_f32_e32 v7, v7
	v_cvt_i32_f32_e32 v8, v9
	s_mov_b32 s0, 0x7f800000
	v_cmp_neq_f32_e64 vcc, |v3|, s0
	s_mov_b32 s0, 0xc2ce8ed0
	v_cndmask_b32_e32 v3, 0, v4, vcc
	v_ldexp_f32 v4, v7, v8
	v_cmp_ngt_f32_e32 vcc, s0, v6
	v_add_f32_e32 v3, v5, v3
	v_cndmask_b32_e32 v4, 0, v4, vcc
	v_mov_b32_e32 v5, 0x7f800000
	v_cmp_nlt_f32_e32 vcc, s1, v6
	v_cndmask_b32_e32 v4, v5, v4, vcc
	v_fma_f32 v3, v4, v3, v4
	v_cmp_class_f32_e64 vcc, v4, s2
	v_cndmask_b32_e32 v3, v3, v4, vcc
	v_trunc_f32_e32 v4, v2
	v_cmp_eq_f32_e32 vcc, v4, v2
	v_mul_f32_e32 v4, 0.5, v2
	v_trunc_f32_e32 v7, v4
	v_cmp_neq_f32_e64 s[0:1], v7, v4
	s_and_b64 s[0:1], vcc, s[0:1]
	v_cndmask_b32_e64 v4, 1.0, v1, s[0:1]
	s_brev_b32 s7, -2
	v_mov_b32_e32 v6, 0x7fc00000
	v_bfi_b32 v3, s7, v3, v4
	v_cndmask_b32_e32 v4, v6, v3, vcc
	v_cmp_gt_f32_e32 vcc, 0, v1
	v_cndmask_b32_e32 v3, v3, v4, vcc
	v_cmp_class_f32_e64 s[20:21], v1, s2
	v_cmp_eq_f32_e32 vcc, 0, v1
	v_cmp_gt_f32_e64 s[2:3], 0, v2
	s_xor_b64 s[2:3], s[2:3], vcc
	v_cndmask_b32_e64 v2, v5, 0, s[2:3]
	v_cndmask_b32_e64 v4, 0, v1, s[0:1]
	v_bfi_b32 v2, s7, v2, v4
	s_or_b64 vcc, vcc, s[20:21]
	v_cndmask_b32_e32 v2, v3, v2, vcc
	v_cmp_o_f32_e32 vcc, v1, v1
	v_cndmask_b32_e32 v2, v6, v2, vcc
.LBB16_8:
	s_load_dwordx8 s[20:27], s[4:5], 0x0
	s_waitcnt lgkmcnt(0)
	s_cmp_lg_u64 s[24:25], 0
	s_cselect_b64 s[2:3], -1, 0
	s_cmp_eq_u64 s[24:25], 0
	s_cbranch_scc1 .LBB16_12
; %bb.9:
	s_lshl_b64 s[0:1], s[10:11], 2
	s_add_u32 s0, s24, s0
	s_addc_u32 s1, s25, s1
	s_load_dword s7, s[0:1], 0x0
	s_branch .LBB16_13
.LBB16_10:
                                        ; implicit-def: $sgpr28_sgpr29
	s_branch .LBB16_2
.LBB16_11:
                                        ; implicit-def: $sgpr30_sgpr31
	s_branch .LBB16_5
.LBB16_12:
	s_mov_b32 s7, 0xff800000
.LBB16_13:
	s_mul_i32 s0, s35, s8
	s_add_i32 s0, s0, s10
	s_mul_i32 s0, s0, s34
	s_add_i32 s4, s0, s6
	s_ashr_i32 s5, s4, 31
	s_lshl_b64 s[0:1], s[4:5], 12
	s_add_u32 s0, s20, s0
	s_addc_u32 s1, s21, s1
	v_lshlrev_b32_e32 v1, 2, v0
	global_load_dword v3, v1, s[0:1]
	s_cmp_eq_u64 s[22:23], 0
	s_cselect_b64 s[0:1], -1, 0
	s_cmp_lg_u64 s[22:23], 0
	v_mov_b32_e32 v8, 0
	s_cbranch_scc0 .LBB16_15
; %bb.14:
	s_mul_i32 s8, s13, s6
	s_mul_hi_u32 s9, s12, s6
	s_add_i32 s9, s9, s8
	s_mul_i32 s6, s12, s6
	s_mul_i32 s8, s28, s15
	s_mul_hi_u32 s12, s28, s14
	s_add_i32 s8, s12, s8
	s_mul_i32 s12, s29, s14
	s_add_i32 s8, s8, s12
	s_mul_i32 s12, s28, s14
	s_add_u32 s6, s12, s6
	s_addc_u32 s9, s8, s9
	s_mul_i32 s8, s30, s17
	s_mul_hi_u32 s12, s30, s16
	s_add_i32 s8, s12, s8
	s_mul_i32 s12, s31, s16
	s_add_i32 s12, s8, s12
	s_mul_i32 s8, s30, s16
	s_add_u32 s8, s6, s8
	s_addc_u32 s9, s9, s12
	s_lshr_b64 s[8:9], s[8:9], 2
	s_and_b64 s[0:1], s[0:1], exec
	s_cselect_b32 s1, 0, s9
	s_cselect_b32 s0, 0, s8
	s_lshl_b64 s[0:1], s[0:1], 2
	s_add_u32 s0, s22, s0
	s_addc_u32 s1, s23, s1
	global_load_dword v4, v1, s[0:1]
	s_waitcnt vmcnt(0)
	v_mul_f32_e32 v8, v2, v4
.LBB16_15:
	s_waitcnt vmcnt(0)
	v_fmac_f32_e32 v8, s18, v3
	v_mbcnt_lo_u32_b32 v3, -1, 0
	v_mbcnt_hi_u32_b32 v7, -1, v3
	v_and_b32_e32 v3, 0x60, v7
	v_add_u32_e32 v10, 32, v3
	v_xor_b32_e32 v3, 16, v7
	v_cmp_lt_i32_e32 vcc, v3, v10
	s_waitcnt lgkmcnt(0)
	v_max_f32_e64 v2, s7, s7
	v_cndmask_b32_e32 v3, v7, v3, vcc
	v_max_f32_e32 v2, v2, v8
	v_lshlrev_b32_e32 v3, 2, v3
	ds_bpermute_b32 v4, v3, v2
	s_waitcnt lgkmcnt(0)
	v_max_f32_e32 v4, v4, v4
	v_max_f32_e32 v2, v2, v4
	v_xor_b32_e32 v4, 8, v7
	v_cmp_lt_i32_e32 vcc, v4, v10
	v_cndmask_b32_e32 v4, v7, v4, vcc
	v_lshlrev_b32_e32 v4, 2, v4
	ds_bpermute_b32 v5, v4, v2
	s_waitcnt lgkmcnt(0)
	v_max_f32_e32 v5, v5, v5
	v_max_f32_e32 v2, v2, v5
	v_xor_b32_e32 v5, 4, v7
	v_cmp_lt_i32_e32 vcc, v5, v10
	v_cndmask_b32_e32 v5, v7, v5, vcc
	;; [unrolled: 8-line block ×3, first 2 shown]
	v_lshlrev_b32_e32 v6, 2, v2
	ds_bpermute_b32 v11, v6, v9
	v_lshl_add_u32 v2, v0, 2, 0
	ds_write_b32 v2, v8 offset:128
	v_and_b32_e32 v8, 31, v0
	v_lshrrev_b32_e32 v0, 3, v0
	s_waitcnt lgkmcnt(1)
	v_max_f32_e32 v11, v11, v11
	v_max_f32_e32 v9, v9, v11
	v_xor_b32_e32 v11, 1, v7
	v_cmp_lt_i32_e32 vcc, v11, v10
	v_cndmask_b32_e32 v7, v7, v11, vcc
	v_lshlrev_b32_e32 v7, 2, v7
	ds_bpermute_b32 v10, v7, v9
	v_cmp_eq_u32_e32 vcc, 0, v8
	s_and_saveexec_b64 s[0:1], vcc
	s_xor_b64 s[0:1], exec, s[0:1]
	s_cbranch_execz .LBB16_17
; %bb.16:
	s_waitcnt lgkmcnt(0)
	v_max_f32_e32 v10, v10, v10
	v_max_f32_e32 v9, v9, v9
	;; [unrolled: 1-line block ×3, first 2 shown]
	v_add_u32_e32 v10, 0, v0
	ds_write_b32 v10, v9
.LBB16_17:
	s_or_b64 exec, exec, s[0:1]
	v_lshl_add_u32 v8, v8, 2, 0
	s_waitcnt lgkmcnt(0)
	s_barrier
	ds_read_b32 v9, v8
	ds_read_b32 v10, v2 offset:128
	s_mov_b32 s0, 0x3fb8aa3b
	s_mov_b32 s6, 0x42b17218
	s_waitcnt lgkmcnt(1)
	ds_bpermute_b32 v11, v3, v9
	v_max_f32_e32 v9, v9, v9
	s_waitcnt lgkmcnt(0)
	v_max_f32_e32 v11, v11, v11
	v_max_f32_e32 v9, v9, v11
	ds_bpermute_b32 v11, v4, v9
	s_waitcnt lgkmcnt(0)
	v_max_f32_e32 v11, v11, v11
	v_max_f32_e32 v9, v9, v11
	ds_bpermute_b32 v11, v5, v9
	;; [unrolled: 4-line block ×4, first 2 shown]
	s_waitcnt lgkmcnt(0)
	v_max_f32_e32 v11, v11, v11
	v_max_f32_e32 v9, v9, v11
	v_sub_f32_e32 v10, v10, v9
	v_mul_f32_e32 v11, 0x3fb8aa3b, v10
	v_fma_f32 v12, v10, s0, -v11
	v_rndne_f32_e32 v13, v11
	v_fmac_f32_e32 v12, 0x32a5705f, v10
	v_sub_f32_e32 v11, v11, v13
	v_add_f32_e32 v11, v11, v12
	v_cvt_i32_f32_e32 v13, v13
	v_exp_f32_e32 v11, v11
	s_mov_b32 s0, 0xc2ce8ed0
	v_cmp_ngt_f32_e64 s[0:1], s0, v10
	v_mov_b32_e32 v12, 0x7f800000
	v_ldexp_f32 v11, v11, v13
	v_cndmask_b32_e64 v11, 0, v11, s[0:1]
	v_cmp_nlt_f32_e64 s[0:1], s6, v10
	v_cndmask_b32_e64 v12, v12, v11, s[0:1]
	ds_bpermute_b32 v10, v3, v12
	ds_write_b32 v2, v12 offset:128
	s_waitcnt lgkmcnt(1)
	v_add_f32_e32 v10, v12, v10
	ds_bpermute_b32 v11, v4, v10
	s_waitcnt lgkmcnt(0)
	v_add_f32_e32 v10, v10, v11
	ds_bpermute_b32 v11, v5, v10
	;; [unrolled: 3-line block ×4, first 2 shown]
	s_and_saveexec_b64 s[0:1], vcc
	s_cbranch_execz .LBB16_19
; %bb.18:
	s_waitcnt lgkmcnt(0)
	v_add_f32_e32 v10, v10, v11
	v_add_u32_e32 v0, 0, v0
	ds_write_b32 v0, v10
.LBB16_19:
	s_or_b64 exec, exec, s[0:1]
	s_waitcnt lgkmcnt(0)
	s_barrier
	ds_read_b32 v0, v8
	s_lshl_b64 s[0:1], s[4:5], 10
	s_andn2_b64 vcc, exec, s[2:3]
	s_waitcnt lgkmcnt(0)
	ds_bpermute_b32 v3, v3, v0
	s_waitcnt lgkmcnt(0)
	v_add_f32_e32 v0, v0, v3
	ds_bpermute_b32 v3, v4, v0
	s_waitcnt lgkmcnt(0)
	v_add_f32_e32 v0, v0, v3
	;; [unrolled: 3-line block ×5, first 2 shown]
	s_cbranch_vccnz .LBB16_21
; %bb.20:
	s_lshl_b64 s[2:3], s[10:11], 2
	s_add_u32 s2, s24, s2
	s_addc_u32 s3, s25, s3
	s_load_dword s2, s[2:3], 0x0
	s_mov_b32 s3, 0x3fb8aa3b
	s_waitcnt lgkmcnt(0)
	v_sub_f32_e32 v3, s2, v9
	v_mul_f32_e32 v4, 0x3fb8aa3b, v3
	v_fma_f32 v5, v3, s3, -v4
	v_rndne_f32_e32 v6, v4
	v_fmac_f32_e32 v5, 0x32a5705f, v3
	v_sub_f32_e32 v4, v4, v6
	v_add_f32_e32 v4, v4, v5
	v_cvt_i32_f32_e32 v6, v6
	v_exp_f32_e32 v4, v4
	s_mov_b32 s2, 0xc2ce8ed0
	s_mov_b32 s3, 0x42b17218
	v_cmp_ngt_f32_e32 vcc, s2, v3
	v_ldexp_f32 v4, v4, v6
	v_cndmask_b32_e32 v4, 0, v4, vcc
	v_mov_b32_e32 v5, 0x7f800000
	v_cmp_nlt_f32_e32 vcc, s3, v3
	v_cndmask_b32_e32 v3, v5, v4, vcc
	v_add_f32_e32 v0, v0, v3
.LBB16_21:
	v_div_scale_f32 v3, s[2:3], v0, v0, 1.0
	v_div_scale_f32 v4, vcc, 1.0, v0, 1.0
	ds_read_b32 v2, v2 offset:128
	s_lshl_b64 s[0:1], s[0:1], 2
	s_add_u32 s0, s26, s0
	s_addc_u32 s1, s27, s1
	v_rcp_f32_e32 v5, v3
	v_fma_f32 v6, -v3, v5, 1.0
	v_fmac_f32_e32 v5, v6, v5
	v_mul_f32_e32 v6, v4, v5
	v_fma_f32 v7, -v3, v6, v4
	v_fmac_f32_e32 v6, v7, v5
	v_fma_f32 v3, -v3, v6, v4
	v_div_fmas_f32 v3, v3, v5, v6
	v_div_fixup_f32 v0, v3, v0, 1.0
	s_waitcnt lgkmcnt(0)
	v_mul_f32_e32 v0, v0, v2
	global_store_dword v1, v0, s[0:1]
	s_endpgm
	.section	.rodata,"a",@progbits
	.p2align	6, 0x0
	.amdhsa_kernel _ZL12soft_max_f32ILb1ELi1024ELi1024EfEvPKfPKT2_S1_Pf15soft_max_params
		.amdhsa_group_segment_fixed_size 0
		.amdhsa_private_segment_fixed_size 0
		.amdhsa_kernarg_size 416
		.amdhsa_user_sgpr_count 6
		.amdhsa_user_sgpr_private_segment_buffer 1
		.amdhsa_user_sgpr_dispatch_ptr 0
		.amdhsa_user_sgpr_queue_ptr 0
		.amdhsa_user_sgpr_kernarg_segment_ptr 1
		.amdhsa_user_sgpr_dispatch_id 0
		.amdhsa_user_sgpr_flat_scratch_init 0
		.amdhsa_user_sgpr_private_segment_size 0
		.amdhsa_uses_dynamic_stack 0
		.amdhsa_system_sgpr_private_segment_wavefront_offset 0
		.amdhsa_system_sgpr_workgroup_id_x 1
		.amdhsa_system_sgpr_workgroup_id_y 1
		.amdhsa_system_sgpr_workgroup_id_z 1
		.amdhsa_system_sgpr_workgroup_info 0
		.amdhsa_system_vgpr_workitem_id 0
		.amdhsa_next_free_vgpr 14
		.amdhsa_next_free_sgpr 36
		.amdhsa_reserve_vcc 1
		.amdhsa_reserve_flat_scratch 0
		.amdhsa_float_round_mode_32 0
		.amdhsa_float_round_mode_16_64 0
		.amdhsa_float_denorm_mode_32 3
		.amdhsa_float_denorm_mode_16_64 3
		.amdhsa_dx10_clamp 1
		.amdhsa_ieee_mode 1
		.amdhsa_fp16_overflow 0
		.amdhsa_exception_fp_ieee_invalid_op 0
		.amdhsa_exception_fp_denorm_src 0
		.amdhsa_exception_fp_ieee_div_zero 0
		.amdhsa_exception_fp_ieee_overflow 0
		.amdhsa_exception_fp_ieee_underflow 0
		.amdhsa_exception_fp_ieee_inexact 0
		.amdhsa_exception_int_div_zero 0
	.end_amdhsa_kernel
	.section	.text._ZL12soft_max_f32ILb1ELi1024ELi1024EfEvPKfPKT2_S1_Pf15soft_max_params,"axG",@progbits,_ZL12soft_max_f32ILb1ELi1024ELi1024EfEvPKfPKT2_S1_Pf15soft_max_params,comdat
.Lfunc_end16:
	.size	_ZL12soft_max_f32ILb1ELi1024ELi1024EfEvPKfPKT2_S1_Pf15soft_max_params, .Lfunc_end16-_ZL12soft_max_f32ILb1ELi1024ELi1024EfEvPKfPKT2_S1_Pf15soft_max_params
                                        ; -- End function
	.set _ZL12soft_max_f32ILb1ELi1024ELi1024EfEvPKfPKT2_S1_Pf15soft_max_params.num_vgpr, 14
	.set _ZL12soft_max_f32ILb1ELi1024ELi1024EfEvPKfPKT2_S1_Pf15soft_max_params.num_agpr, 0
	.set _ZL12soft_max_f32ILb1ELi1024ELi1024EfEvPKfPKT2_S1_Pf15soft_max_params.numbered_sgpr, 36
	.set _ZL12soft_max_f32ILb1ELi1024ELi1024EfEvPKfPKT2_S1_Pf15soft_max_params.num_named_barrier, 0
	.set _ZL12soft_max_f32ILb1ELi1024ELi1024EfEvPKfPKT2_S1_Pf15soft_max_params.private_seg_size, 0
	.set _ZL12soft_max_f32ILb1ELi1024ELi1024EfEvPKfPKT2_S1_Pf15soft_max_params.uses_vcc, 1
	.set _ZL12soft_max_f32ILb1ELi1024ELi1024EfEvPKfPKT2_S1_Pf15soft_max_params.uses_flat_scratch, 0
	.set _ZL12soft_max_f32ILb1ELi1024ELi1024EfEvPKfPKT2_S1_Pf15soft_max_params.has_dyn_sized_stack, 0
	.set _ZL12soft_max_f32ILb1ELi1024ELi1024EfEvPKfPKT2_S1_Pf15soft_max_params.has_recursion, 0
	.set _ZL12soft_max_f32ILb1ELi1024ELi1024EfEvPKfPKT2_S1_Pf15soft_max_params.has_indirect_call, 0
	.section	.AMDGPU.csdata,"",@progbits
; Kernel info:
; codeLenInByte = 3548
; TotalNumSgprs: 40
; NumVgprs: 14
; ScratchSize: 0
; MemoryBound: 0
; FloatMode: 240
; IeeeMode: 1
; LDSByteSize: 0 bytes/workgroup (compile time only)
; SGPRBlocks: 4
; VGPRBlocks: 3
; NumSGPRsForWavesPerEU: 40
; NumVGPRsForWavesPerEU: 14
; Occupancy: 10
; WaveLimiterHint : 1
; COMPUTE_PGM_RSRC2:SCRATCH_EN: 0
; COMPUTE_PGM_RSRC2:USER_SGPR: 6
; COMPUTE_PGM_RSRC2:TRAP_HANDLER: 0
; COMPUTE_PGM_RSRC2:TGID_X_EN: 1
; COMPUTE_PGM_RSRC2:TGID_Y_EN: 1
; COMPUTE_PGM_RSRC2:TGID_Z_EN: 1
; COMPUTE_PGM_RSRC2:TIDIG_COMP_CNT: 0
	.section	.text._ZL12soft_max_f32ILb1ELi512ELi512EfEvPKfPKT2_S1_Pf15soft_max_params,"axG",@progbits,_ZL12soft_max_f32ILb1ELi512ELi512EfEvPKfPKT2_S1_Pf15soft_max_params,comdat
	.globl	_ZL12soft_max_f32ILb1ELi512ELi512EfEvPKfPKT2_S1_Pf15soft_max_params ; -- Begin function _ZL12soft_max_f32ILb1ELi512ELi512EfEvPKfPKT2_S1_Pf15soft_max_params
	.p2align	8
	.type	_ZL12soft_max_f32ILb1ELi512ELi512EfEvPKfPKT2_S1_Pf15soft_max_params,@function
_ZL12soft_max_f32ILb1ELi512ELi512EfEvPKfPKT2_S1_Pf15soft_max_params: ; @_ZL12soft_max_f32ILb1ELi512ELi512EfEvPKfPKT2_S1_Pf15soft_max_params
; %bb.0:
	s_load_dwordx8 s[12:19], s[4:5], 0x68
	s_load_dwordx2 s[0:1], s[4:5], 0x88
	s_mov_b32 s11, 0
	s_mov_b32 s2, s11
	;; [unrolled: 1-line block ×3, first 2 shown]
	s_waitcnt lgkmcnt(0)
	s_mov_b32 s3, s19
	s_cmp_lg_u64 s[2:3], 0
	s_cbranch_scc0 .LBB17_10
; %bb.1:
	s_ashr_i32 s2, s19, 31
	s_add_u32 s20, s18, s2
	s_mov_b32 s3, s2
	s_addc_u32 s21, s19, s2
	s_xor_b64 s[20:21], s[20:21], s[2:3]
	v_cvt_f32_u32_e32 v1, s20
	v_cvt_f32_u32_e32 v2, s21
	s_sub_u32 s7, 0, s20
	s_subb_u32 s9, 0, s21
	v_madmk_f32 v1, v2, 0x4f800000, v1
	v_rcp_f32_e32 v1, v1
	v_mul_f32_e32 v1, 0x5f7ffffc, v1
	v_mul_f32_e32 v2, 0x2f800000, v1
	v_trunc_f32_e32 v2, v2
	v_madmk_f32 v1, v2, 0xcf800000, v1
	v_cvt_u32_f32_e32 v2, v2
	v_cvt_u32_f32_e32 v1, v1
	v_readfirstlane_b32 s19, v2
	v_readfirstlane_b32 s22, v1
	s_mul_i32 s23, s7, s19
	s_mul_hi_u32 s25, s7, s22
	s_mul_i32 s24, s9, s22
	s_add_i32 s23, s25, s23
	s_add_i32 s23, s23, s24
	s_mul_i32 s26, s7, s22
	s_mul_i32 s25, s22, s23
	s_mul_hi_u32 s27, s22, s26
	s_mul_hi_u32 s24, s22, s23
	s_add_u32 s25, s27, s25
	s_addc_u32 s24, 0, s24
	s_mul_hi_u32 s28, s19, s26
	s_mul_i32 s26, s19, s26
	s_add_u32 s25, s25, s26
	s_mul_hi_u32 s27, s19, s23
	s_addc_u32 s24, s24, s28
	s_addc_u32 s25, s27, 0
	s_mul_i32 s23, s19, s23
	s_add_u32 s23, s24, s23
	s_addc_u32 s24, 0, s25
	s_add_u32 s25, s22, s23
	s_cselect_b64 s[22:23], -1, 0
	s_cmp_lg_u64 s[22:23], 0
	s_addc_u32 s19, s19, s24
	s_mul_i32 s22, s7, s19
	s_mul_hi_u32 s23, s7, s25
	s_add_i32 s22, s23, s22
	s_mul_i32 s9, s9, s25
	s_add_i32 s22, s22, s9
	s_mul_i32 s7, s7, s25
	s_mul_hi_u32 s23, s19, s7
	s_mul_i32 s24, s19, s7
	s_mul_i32 s27, s25, s22
	s_mul_hi_u32 s7, s25, s7
	s_mul_hi_u32 s26, s25, s22
	s_add_u32 s7, s7, s27
	s_addc_u32 s26, 0, s26
	s_add_u32 s7, s7, s24
	s_mul_hi_u32 s9, s19, s22
	s_addc_u32 s7, s26, s23
	s_addc_u32 s9, s9, 0
	s_mul_i32 s22, s19, s22
	s_add_u32 s7, s7, s22
	s_addc_u32 s9, 0, s9
	s_add_u32 s7, s25, s7
	s_cselect_b64 s[22:23], -1, 0
	s_cmp_lg_u64 s[22:23], 0
	s_addc_u32 s9, s19, s9
	s_add_u32 s22, s10, 0
	s_addc_u32 s23, 0, 0
	s_xor_b64 s[22:23], s[22:23], 0
	s_mul_i32 s24, s22, s9
	s_mul_hi_u32 s25, s22, s7
	s_mul_hi_u32 s19, s22, s9
	s_add_u32 s24, s25, s24
	s_addc_u32 s19, 0, s19
	s_mul_hi_u32 s26, s23, s7
	s_mul_i32 s7, s23, s7
	s_add_u32 s7, s24, s7
	s_mul_hi_u32 s25, s23, s9
	s_addc_u32 s7, s19, s26
	s_addc_u32 s19, s25, 0
	s_mul_i32 s9, s23, s9
	s_add_u32 s7, s7, s9
	s_addc_u32 s9, 0, s19
	s_mul_i32 s9, s20, s9
	s_mul_hi_u32 s19, s20, s7
	s_add_i32 s9, s19, s9
	s_mul_i32 s19, s21, s7
	s_add_i32 s9, s9, s19
	s_sub_i32 s19, s23, s9
	s_mul_i32 s7, s20, s7
	s_sub_u32 s7, s22, s7
	s_cselect_b64 s[24:25], -1, 0
	s_cmp_lg_u64 s[24:25], 0
	s_subb_u32 s19, s19, s21
	s_sub_u32 s22, s7, s20
	s_cselect_b64 s[26:27], -1, 0
	s_cmp_lg_u64 s[26:27], 0
	s_subb_u32 s28, s19, 0
	s_cmp_ge_u32 s28, s21
	s_cselect_b32 s29, -1, 0
	s_cmp_ge_u32 s22, s20
	s_cselect_b32 s30, -1, 0
	s_cmp_eq_u32 s28, s21
	s_cselect_b32 s29, s30, s29
	s_cmp_lg_u64 s[26:27], 0
	s_subb_u32 s19, s19, s21
	s_sub_u32 s30, s22, s20
	s_cselect_b64 s[26:27], -1, 0
	s_cmp_lg_u64 s[26:27], 0
	s_subb_u32 s19, s19, 0
	s_cmp_lg_u32 s29, 0
	s_cselect_b32 s22, s30, s22
	s_cselect_b32 s19, s19, s28
	s_cmp_lg_u64 s[24:25], 0
	s_subb_u32 s9, s23, s9
	s_cmp_ge_u32 s9, s21
	s_cselect_b32 s23, -1, 0
	s_cmp_ge_u32 s7, s20
	s_cselect_b32 s20, -1, 0
	s_cmp_eq_u32 s9, s21
	s_cselect_b32 s20, s20, s23
	s_cmp_lg_u32 s20, 0
	s_cselect_b32 s21, s19, s9
	s_cselect_b32 s20, s22, s7
	s_xor_b64 s[20:21], s[20:21], 0
	s_sub_u32 s28, s20, 0
	s_subb_u32 s29, s21, 0
	s_cbranch_execnz .LBB17_3
.LBB17_2:
	v_cvt_f32_u32_e32 v1, s18
	s_sub_i32 s2, 0, s18
	s_mov_b32 s29, 0
	v_rcp_iflag_f32_e32 v1, v1
	v_mul_f32_e32 v1, 0x4f7ffffe, v1
	v_cvt_u32_f32_e32 v1, v1
	v_readfirstlane_b32 s3, v1
	s_mul_i32 s2, s2, s3
	s_mul_hi_u32 s2, s3, s2
	s_add_i32 s3, s3, s2
	s_mul_hi_u32 s2, s10, s3
	s_mul_i32 s2, s2, s18
	s_sub_i32 s2, s10, s2
	s_sub_i32 s3, s2, s18
	s_cmp_ge_u32 s2, s18
	s_cselect_b32 s2, s3, s2
	s_sub_i32 s3, s2, s18
	s_cmp_ge_u32 s2, s18
	s_cselect_b32 s28, s3, s2
.LBB17_3:
	s_load_dwordx2 s[18:19], s[4:5], 0x90
	s_mov_b32 s2, 0
	s_mov_b32 s3, s1
	s_cmp_lg_u64 s[2:3], 0
	s_cbranch_scc0 .LBB17_11
; %bb.4:
	s_ashr_i32 s2, s1, 31
	s_add_u32 s20, s0, s2
	s_mov_b32 s3, s2
	s_addc_u32 s21, s1, s2
	s_xor_b64 s[20:21], s[20:21], s[2:3]
	v_cvt_f32_u32_e32 v1, s20
	v_cvt_f32_u32_e32 v2, s21
	s_sub_u32 s1, 0, s20
	s_subb_u32 s7, 0, s21
	v_madmk_f32 v1, v2, 0x4f800000, v1
	v_rcp_f32_e32 v1, v1
	v_mul_f32_e32 v1, 0x5f7ffffc, v1
	v_mul_f32_e32 v2, 0x2f800000, v1
	v_trunc_f32_e32 v2, v2
	v_madmk_f32 v1, v2, 0xcf800000, v1
	v_cvt_u32_f32_e32 v2, v2
	v_cvt_u32_f32_e32 v1, v1
	v_readfirstlane_b32 s9, v2
	v_readfirstlane_b32 s22, v1
	s_mul_i32 s23, s1, s9
	s_mul_hi_u32 s25, s1, s22
	s_mul_i32 s24, s7, s22
	s_add_i32 s23, s25, s23
	s_add_i32 s23, s23, s24
	s_mul_i32 s26, s1, s22
	s_mul_i32 s25, s22, s23
	s_mul_hi_u32 s27, s22, s26
	s_mul_hi_u32 s24, s22, s23
	s_add_u32 s25, s27, s25
	s_addc_u32 s24, 0, s24
	s_mul_hi_u32 s30, s9, s26
	s_mul_i32 s26, s9, s26
	s_add_u32 s25, s25, s26
	s_mul_hi_u32 s27, s9, s23
	s_addc_u32 s24, s24, s30
	s_addc_u32 s25, s27, 0
	s_mul_i32 s23, s9, s23
	s_add_u32 s23, s24, s23
	s_addc_u32 s24, 0, s25
	s_add_u32 s25, s22, s23
	s_cselect_b64 s[22:23], -1, 0
	s_cmp_lg_u64 s[22:23], 0
	s_addc_u32 s9, s9, s24
	s_mul_i32 s22, s1, s9
	s_mul_hi_u32 s23, s1, s25
	s_add_i32 s22, s23, s22
	s_mul_i32 s7, s7, s25
	s_add_i32 s22, s22, s7
	s_mul_i32 s1, s1, s25
	s_mul_hi_u32 s23, s9, s1
	s_mul_i32 s24, s9, s1
	s_mul_i32 s27, s25, s22
	s_mul_hi_u32 s1, s25, s1
	s_mul_hi_u32 s26, s25, s22
	s_add_u32 s1, s1, s27
	s_addc_u32 s26, 0, s26
	s_add_u32 s1, s1, s24
	s_mul_hi_u32 s7, s9, s22
	s_addc_u32 s1, s26, s23
	s_addc_u32 s7, s7, 0
	s_mul_i32 s22, s9, s22
	s_add_u32 s1, s1, s22
	s_addc_u32 s7, 0, s7
	s_add_u32 s1, s25, s1
	s_cselect_b64 s[22:23], -1, 0
	s_cmp_lg_u64 s[22:23], 0
	s_addc_u32 s7, s9, s7
	s_add_u32 s22, s8, 0
	s_addc_u32 s23, 0, 0
	s_xor_b64 s[22:23], s[22:23], 0
	s_mul_i32 s24, s22, s7
	s_mul_hi_u32 s25, s22, s1
	s_mul_hi_u32 s9, s22, s7
	s_add_u32 s24, s25, s24
	s_addc_u32 s9, 0, s9
	s_mul_hi_u32 s26, s23, s1
	s_mul_i32 s1, s23, s1
	s_add_u32 s1, s24, s1
	s_mul_hi_u32 s25, s23, s7
	s_addc_u32 s1, s9, s26
	s_addc_u32 s9, s25, 0
	s_mul_i32 s7, s23, s7
	s_add_u32 s1, s1, s7
	s_addc_u32 s7, 0, s9
	s_mul_i32 s7, s20, s7
	s_mul_hi_u32 s9, s20, s1
	s_add_i32 s7, s9, s7
	s_mul_i32 s9, s21, s1
	s_add_i32 s7, s7, s9
	s_sub_i32 s9, s23, s7
	s_mul_i32 s1, s20, s1
	s_sub_u32 s1, s22, s1
	s_cselect_b64 s[24:25], -1, 0
	s_cmp_lg_u64 s[24:25], 0
	s_subb_u32 s9, s9, s21
	s_sub_u32 s22, s1, s20
	s_cselect_b64 s[26:27], -1, 0
	s_cmp_lg_u64 s[26:27], 0
	s_subb_u32 s30, s9, 0
	s_cmp_ge_u32 s30, s21
	s_cselect_b32 s31, -1, 0
	s_cmp_ge_u32 s22, s20
	s_cselect_b32 s33, -1, 0
	s_cmp_eq_u32 s30, s21
	s_cselect_b32 s31, s33, s31
	s_cmp_lg_u64 s[26:27], 0
	s_subb_u32 s9, s9, s21
	s_sub_u32 s33, s22, s20
	s_cselect_b64 s[26:27], -1, 0
	s_cmp_lg_u64 s[26:27], 0
	s_subb_u32 s9, s9, 0
	s_cmp_lg_u32 s31, 0
	s_cselect_b32 s22, s33, s22
	s_cselect_b32 s9, s9, s30
	s_cmp_lg_u64 s[24:25], 0
	s_subb_u32 s7, s23, s7
	s_cmp_ge_u32 s7, s21
	s_cselect_b32 s23, -1, 0
	s_cmp_ge_u32 s1, s20
	s_cselect_b32 s20, -1, 0
	s_cmp_eq_u32 s7, s21
	s_cselect_b32 s20, s20, s23
	s_cmp_lg_u32 s20, 0
	s_cselect_b32 s21, s9, s7
	s_cselect_b32 s20, s22, s1
	s_xor_b64 s[20:21], s[20:21], 0
	s_sub_u32 s30, s20, 0
	s_subb_u32 s31, s21, 0
	s_cbranch_execnz .LBB17_6
.LBB17_5:
	v_cvt_f32_u32_e32 v1, s0
	s_sub_i32 s1, 0, s0
	s_mov_b32 s31, 0
	v_rcp_iflag_f32_e32 v1, v1
	v_mul_f32_e32 v1, 0x4f7ffffe, v1
	v_cvt_u32_f32_e32 v1, v1
	v_readfirstlane_b32 s2, v1
	s_mul_i32 s1, s1, s2
	s_mul_hi_u32 s1, s2, s1
	s_add_i32 s2, s2, s1
	s_mul_hi_u32 s1, s8, s2
	s_mul_i32 s1, s1, s0
	s_sub_i32 s1, s8, s1
	s_sub_i32 s2, s1, s0
	s_cmp_ge_u32 s1, s0
	s_cselect_b32 s1, s2, s1
	s_sub_i32 s2, s1, s0
	s_cmp_ge_u32 s1, s0
	s_cselect_b32 s30, s2, s1
.LBB17_6:
	s_load_dwordx2 s[34:35], s[4:5], 0xa0
	s_waitcnt lgkmcnt(0)
	v_cmp_le_f32_e64 s[0:1], s19, 0
	s_and_b64 vcc, exec, s[0:1]
	v_mov_b32_e32 v2, 1.0
	s_cbranch_vccnz .LBB17_8
; %bb.7:
	s_load_dword s2, s[4:5], 0x28
	s_load_dwordx2 s[0:1], s[4:5], 0x98
	s_add_i32 s3, s10, 1
	s_waitcnt lgkmcnt(0)
	s_sub_i32 s7, s10, s2
	v_mov_b32_e32 v2, s0
	s_lshl_b32 s0, s7, 1
	s_or_b32 s7, s0, 1
	s_cmp_lt_u32 s10, s2
	s_cselect_b64 vcc, -1, 0
	v_mov_b32_e32 v1, s1
	s_and_b64 s[0:1], vcc, exec
	s_cselect_b32 s0, s3, s7
	v_cndmask_b32_e32 v1, v1, v2, vcc
	v_cvt_f32_i32_e32 v2, s0
	v_cmp_neq_f32_e32 vcc, 1.0, v1
	s_mov_b32 s0, 0x3f2aaaab
	s_movk_i32 s2, 0x204
	v_cndmask_b32_e32 v2, 1.0, v2, vcc
	v_cmp_neq_f32_e32 vcc, 0, v2
	v_cndmask_b32_e32 v1, 1.0, v1, vcc
	v_frexp_mant_f32_e64 v3, |v1|
	v_cmp_gt_f32_e32 vcc, s0, v3
	v_cndmask_b32_e64 v4, 1.0, 2.0, vcc
	v_mul_f32_e32 v3, v3, v4
	v_add_f32_e32 v4, 1.0, v3
	v_rcp_f32_e32 v5, v4
	v_add_f32_e32 v6, -1.0, v3
	v_add_f32_e32 v7, -1.0, v4
	v_sub_f32_e32 v3, v3, v7
	v_mul_f32_e32 v7, v6, v5
	v_mul_f32_e32 v8, v4, v7
	v_fma_f32 v4, v7, v4, -v8
	v_fmac_f32_e32 v4, v7, v3
	v_add_f32_e32 v3, v8, v4
	v_sub_f32_e32 v9, v6, v3
	v_sub_f32_e32 v8, v3, v8
	;; [unrolled: 1-line block ×5, first 2 shown]
	v_add_f32_e32 v3, v4, v3
	v_add_f32_e32 v3, v9, v3
	v_mul_f32_e32 v3, v5, v3
	v_add_f32_e32 v5, v7, v3
	v_sub_f32_e32 v4, v5, v7
	v_sub_f32_e32 v6, v3, v4
	v_mul_f32_e32 v3, v5, v5
	v_fma_f32 v4, v5, v5, -v3
	v_add_f32_e32 v7, v6, v6
	v_fmac_f32_e32 v4, v5, v7
	v_add_f32_e32 v7, v3, v4
	v_mov_b32_e32 v8, 0x3e91f4c4
	v_sub_f32_e32 v3, v7, v3
	v_fmac_f32_e32 v8, 0x3e76c4e1, v7
	v_mov_b32_e32 v9, 0x3ecccdef
	v_sub_f32_e32 v3, v4, v3
	v_mul_f32_e32 v4, v5, v7
	v_fmac_f32_e32 v9, v7, v8
	v_fma_f32 v8, v7, v5, -v4
	v_fmac_f32_e32 v8, v7, v6
	v_fmac_f32_e32 v8, v3, v5
	v_add_f32_e32 v10, v4, v8
	v_sub_f32_e32 v4, v10, v4
	v_sub_f32_e32 v8, v8, v4
	v_mul_f32_e32 v4, v7, v9
	v_fma_f32 v7, v7, v9, -v4
	v_fmac_f32_e32 v7, v3, v9
	v_add_f32_e32 v9, v4, v7
	v_sub_f32_e32 v3, v9, v4
	v_sub_f32_e32 v7, v7, v3
	v_cvt_f64_f32_e64 v[3:4], |v1|
	v_add_f32_e32 v11, 0x3f2aaaaa, v9
	v_add_f32_e32 v12, 0xbf2aaaaa, v11
	;; [unrolled: 1-line block ×3, first 2 shown]
	v_frexp_exp_i32_f64_e32 v3, v[3:4]
	v_sub_f32_e32 v9, v9, v12
	v_add_f32_e32 v4, v7, v9
	v_add_f32_e32 v7, v11, v4
	v_sub_f32_e32 v9, v11, v7
	v_add_f32_e32 v4, v4, v9
	v_mul_f32_e32 v9, v10, v7
	v_fma_f32 v11, v10, v7, -v9
	v_subbrev_co_u32_e32 v3, vcc, 0, v3, vcc
	v_cvt_f32_i32_e32 v3, v3
	v_fmac_f32_e32 v11, v10, v4
	s_mov_b32 s0, 0x3f317218
	v_fmac_f32_e32 v11, v8, v7
	v_mul_f32_e32 v4, 0x3f317218, v3
	v_fma_f32 v7, v3, s0, -v4
	v_fmac_f32_e32 v7, 0xb102e308, v3
	v_ldexp_f32 v3, v6, 1
	v_add_f32_e32 v6, v4, v7
	v_sub_f32_e32 v4, v6, v4
	v_ldexp_f32 v5, v5, 1
	v_sub_f32_e32 v4, v7, v4
	v_add_f32_e32 v7, v9, v11
	v_sub_f32_e32 v8, v7, v9
	v_add_f32_e32 v9, v5, v7
	v_sub_f32_e32 v8, v11, v8
	v_sub_f32_e32 v5, v9, v5
	;; [unrolled: 1-line block ×3, first 2 shown]
	v_add_f32_e32 v3, v3, v8
	v_add_f32_e32 v3, v3, v5
	;; [unrolled: 1-line block ×3, first 2 shown]
	v_sub_f32_e32 v7, v5, v9
	v_sub_f32_e32 v3, v3, v7
	v_add_f32_e32 v7, v6, v5
	v_sub_f32_e32 v8, v7, v6
	v_sub_f32_e32 v9, v7, v8
	;; [unrolled: 1-line block ×4, first 2 shown]
	v_add_f32_e32 v5, v5, v6
	v_add_f32_e32 v6, v4, v3
	v_sub_f32_e32 v8, v6, v4
	v_sub_f32_e32 v9, v6, v8
	;; [unrolled: 1-line block ×4, first 2 shown]
	v_add_f32_e32 v3, v3, v4
	v_add_f32_e32 v4, v6, v5
	;; [unrolled: 1-line block ×3, first 2 shown]
	v_sub_f32_e32 v6, v5, v7
	v_sub_f32_e32 v4, v4, v6
	v_add_f32_e32 v3, v3, v4
	v_add_f32_e32 v4, v5, v3
	v_sub_f32_e32 v5, v4, v5
	v_sub_f32_e32 v3, v3, v5
	v_mul_f32_e32 v5, v2, v4
	v_fma_f32 v4, v2, v4, -v5
	v_fmac_f32_e32 v4, v2, v3
	v_add_f32_e32 v3, v5, v4
	v_cmp_class_f32_e64 vcc, v5, s2
	v_sub_f32_e32 v6, v3, v5
	v_cndmask_b32_e32 v3, v3, v5, vcc
	s_mov_b32 s1, 0x42b17218
	v_mov_b32_e32 v5, 0x37000000
	v_cmp_eq_f32_e32 vcc, s1, v3
	v_cndmask_b32_e32 v5, 0, v5, vcc
	v_sub_f32_e32 v4, v4, v6
	v_sub_f32_e32 v6, v3, v5
	s_mov_b32 s3, 0x3fb8aa3b
	v_mul_f32_e32 v7, 0x3fb8aa3b, v6
	v_fma_f32 v8, v6, s3, -v7
	v_rndne_f32_e32 v9, v7
	v_fmac_f32_e32 v8, 0x32a5705f, v6
	v_sub_f32_e32 v7, v7, v9
	v_add_f32_e32 v7, v7, v8
	v_exp_f32_e32 v7, v7
	v_cvt_i32_f32_e32 v8, v9
	s_mov_b32 s0, 0x7f800000
	v_cmp_neq_f32_e64 vcc, |v3|, s0
	s_mov_b32 s0, 0xc2ce8ed0
	v_cndmask_b32_e32 v3, 0, v4, vcc
	v_ldexp_f32 v4, v7, v8
	v_cmp_ngt_f32_e32 vcc, s0, v6
	v_add_f32_e32 v3, v5, v3
	v_cndmask_b32_e32 v4, 0, v4, vcc
	v_mov_b32_e32 v5, 0x7f800000
	v_cmp_nlt_f32_e32 vcc, s1, v6
	v_cndmask_b32_e32 v4, v5, v4, vcc
	v_fma_f32 v3, v4, v3, v4
	v_cmp_class_f32_e64 vcc, v4, s2
	v_cndmask_b32_e32 v3, v3, v4, vcc
	v_trunc_f32_e32 v4, v2
	v_cmp_eq_f32_e32 vcc, v4, v2
	v_mul_f32_e32 v4, 0.5, v2
	v_trunc_f32_e32 v7, v4
	v_cmp_neq_f32_e64 s[0:1], v7, v4
	s_and_b64 s[0:1], vcc, s[0:1]
	v_cndmask_b32_e64 v4, 1.0, v1, s[0:1]
	s_brev_b32 s7, -2
	v_mov_b32_e32 v6, 0x7fc00000
	v_bfi_b32 v3, s7, v3, v4
	v_cndmask_b32_e32 v4, v6, v3, vcc
	v_cmp_gt_f32_e32 vcc, 0, v1
	v_cndmask_b32_e32 v3, v3, v4, vcc
	v_cmp_class_f32_e64 s[20:21], v1, s2
	v_cmp_eq_f32_e32 vcc, 0, v1
	v_cmp_gt_f32_e64 s[2:3], 0, v2
	s_xor_b64 s[2:3], s[2:3], vcc
	v_cndmask_b32_e64 v2, v5, 0, s[2:3]
	v_cndmask_b32_e64 v4, 0, v1, s[0:1]
	v_bfi_b32 v2, s7, v2, v4
	s_or_b64 vcc, vcc, s[20:21]
	v_cndmask_b32_e32 v2, v3, v2, vcc
	v_cmp_o_f32_e32 vcc, v1, v1
	v_cndmask_b32_e32 v2, v6, v2, vcc
.LBB17_8:
	s_load_dwordx8 s[20:27], s[4:5], 0x0
	s_waitcnt lgkmcnt(0)
	s_cmp_lg_u64 s[24:25], 0
	s_cselect_b64 s[4:5], -1, 0
	s_cmp_eq_u64 s[24:25], 0
	s_cbranch_scc1 .LBB17_12
; %bb.9:
	s_lshl_b64 s[0:1], s[10:11], 2
	s_add_u32 s0, s24, s0
	s_addc_u32 s1, s25, s1
	s_load_dword s2, s[0:1], 0x0
	s_branch .LBB17_13
.LBB17_10:
                                        ; implicit-def: $sgpr28_sgpr29
	s_branch .LBB17_2
.LBB17_11:
                                        ; implicit-def: $sgpr30_sgpr31
	s_branch .LBB17_5
.LBB17_12:
	s_mov_b32 s2, 0xff800000
.LBB17_13:
	s_mul_i32 s0, s35, s8
	s_add_i32 s0, s0, s10
	s_mul_i32 s0, s0, s34
	s_add_i32 s8, s0, s6
	s_ashr_i32 s9, s8, 31
	s_lshl_b64 s[0:1], s[8:9], 11
	s_add_u32 s0, s20, s0
	s_addc_u32 s1, s21, s1
	v_lshlrev_b32_e32 v1, 2, v0
	global_load_dword v3, v1, s[0:1]
	s_cmp_eq_u64 s[22:23], 0
	s_cselect_b64 s[0:1], -1, 0
	s_cmp_lg_u64 s[22:23], 0
	v_mov_b32_e32 v8, 0
	s_cbranch_scc0 .LBB17_15
; %bb.14:
	s_mul_i32 s3, s13, s6
	s_mul_hi_u32 s7, s12, s6
	s_add_i32 s7, s7, s3
	s_mul_i32 s3, s12, s6
	s_mul_i32 s6, s28, s15
	s_mul_hi_u32 s12, s28, s14
	s_add_i32 s6, s12, s6
	s_mul_i32 s12, s29, s14
	s_add_i32 s6, s6, s12
	s_mul_i32 s12, s28, s14
	s_add_u32 s3, s12, s3
	s_addc_u32 s7, s6, s7
	s_mul_i32 s6, s30, s17
	s_mul_hi_u32 s12, s30, s16
	s_add_i32 s6, s12, s6
	s_mul_i32 s12, s31, s16
	s_add_i32 s12, s6, s12
	s_mul_i32 s6, s30, s16
	s_add_u32 s6, s3, s6
	s_addc_u32 s7, s7, s12
	s_lshr_b64 s[6:7], s[6:7], 2
	s_and_b64 s[0:1], s[0:1], exec
	s_cselect_b32 s1, 0, s7
	s_cselect_b32 s0, 0, s6
	s_lshl_b64 s[0:1], s[0:1], 2
	s_add_u32 s0, s22, s0
	s_addc_u32 s1, s23, s1
	global_load_dword v4, v1, s[0:1]
	s_waitcnt vmcnt(0)
	v_mul_f32_e32 v8, v2, v4
.LBB17_15:
	s_waitcnt vmcnt(0)
	v_fmac_f32_e32 v8, s18, v3
	v_mbcnt_lo_u32_b32 v3, -1, 0
	v_mbcnt_hi_u32_b32 v7, -1, v3
	v_and_b32_e32 v3, 0x60, v7
	v_add_u32_e32 v10, 32, v3
	v_xor_b32_e32 v3, 16, v7
	v_cmp_lt_i32_e32 vcc, v3, v10
	s_waitcnt lgkmcnt(0)
	v_max_f32_e64 v2, s2, s2
	v_cndmask_b32_e32 v3, v7, v3, vcc
	v_max_f32_e32 v2, v2, v8
	v_lshlrev_b32_e32 v3, 2, v3
	ds_bpermute_b32 v4, v3, v2
	s_waitcnt lgkmcnt(0)
	v_max_f32_e32 v4, v4, v4
	v_max_f32_e32 v2, v2, v4
	v_xor_b32_e32 v4, 8, v7
	v_cmp_lt_i32_e32 vcc, v4, v10
	v_cndmask_b32_e32 v4, v7, v4, vcc
	v_lshlrev_b32_e32 v4, 2, v4
	ds_bpermute_b32 v5, v4, v2
	s_waitcnt lgkmcnt(0)
	v_max_f32_e32 v5, v5, v5
	v_max_f32_e32 v2, v2, v5
	v_xor_b32_e32 v5, 4, v7
	v_cmp_lt_i32_e32 vcc, v5, v10
	v_cndmask_b32_e32 v5, v7, v5, vcc
	;; [unrolled: 8-line block ×3, first 2 shown]
	v_lshlrev_b32_e32 v6, 2, v2
	ds_bpermute_b32 v11, v6, v9
	v_lshl_add_u32 v2, v0, 2, 0
	ds_write_b32 v2, v8 offset:128
	v_and_b32_e32 v8, 31, v0
	v_lshrrev_b32_e32 v0, 3, v0
	s_waitcnt lgkmcnt(1)
	v_max_f32_e32 v11, v11, v11
	v_max_f32_e32 v9, v9, v11
	v_xor_b32_e32 v11, 1, v7
	v_cmp_lt_i32_e32 vcc, v11, v10
	v_cndmask_b32_e32 v7, v7, v11, vcc
	v_lshlrev_b32_e32 v7, 2, v7
	ds_bpermute_b32 v10, v7, v9
	v_cmp_eq_u32_e32 vcc, 0, v8
	s_and_saveexec_b64 s[0:1], vcc
	s_xor_b64 s[0:1], exec, s[0:1]
	s_cbranch_execz .LBB17_17
; %bb.16:
	s_waitcnt lgkmcnt(0)
	v_max_f32_e32 v10, v10, v10
	v_max_f32_e32 v9, v9, v9
	;; [unrolled: 1-line block ×3, first 2 shown]
	v_add_u32_e32 v10, 0, v0
	ds_write_b32 v10, v9
.LBB17_17:
	s_or_b64 exec, exec, s[0:1]
	v_cmp_gt_u32_e64 s[0:1], 16, v8
	v_mov_b32_e32 v9, 0xff800000
	v_lshl_add_u32 v8, v8, 2, 0
	s_waitcnt lgkmcnt(0)
	s_barrier
	s_and_saveexec_b64 s[2:3], s[0:1]
; %bb.18:
	ds_read_b32 v9, v8
; %bb.19:
	s_or_b64 exec, exec, s[2:3]
	s_waitcnt lgkmcnt(0)
	ds_bpermute_b32 v10, v3, v9
	v_max_f32_e32 v9, v9, v9
	ds_read_b32 v11, v2 offset:128
	s_mov_b32 s2, 0x3fb8aa3b
	s_mov_b32 s6, 0x42b17218
	s_waitcnt lgkmcnt(1)
	v_max_f32_e32 v10, v10, v10
	v_max_f32_e32 v9, v9, v10
	ds_bpermute_b32 v10, v4, v9
	s_waitcnt lgkmcnt(0)
	v_max_f32_e32 v10, v10, v10
	v_max_f32_e32 v9, v9, v10
	ds_bpermute_b32 v10, v5, v9
	;; [unrolled: 4-line block ×4, first 2 shown]
	s_waitcnt lgkmcnt(0)
	v_max_f32_e32 v10, v10, v10
	v_max_f32_e32 v9, v9, v10
	v_sub_f32_e32 v10, v11, v9
	v_mul_f32_e32 v11, 0x3fb8aa3b, v10
	v_fma_f32 v12, v10, s2, -v11
	v_rndne_f32_e32 v13, v11
	v_fmac_f32_e32 v12, 0x32a5705f, v10
	v_sub_f32_e32 v11, v11, v13
	v_add_f32_e32 v11, v11, v12
	v_cvt_i32_f32_e32 v13, v13
	v_exp_f32_e32 v11, v11
	s_mov_b32 s2, 0xc2ce8ed0
	v_cmp_ngt_f32_e64 s[2:3], s2, v10
	v_mov_b32_e32 v12, 0x7f800000
	v_ldexp_f32 v11, v11, v13
	v_cndmask_b32_e64 v11, 0, v11, s[2:3]
	v_cmp_nlt_f32_e64 s[2:3], s6, v10
	v_cndmask_b32_e64 v12, v12, v11, s[2:3]
	ds_bpermute_b32 v10, v3, v12
	ds_write_b32 v2, v12 offset:128
	s_waitcnt lgkmcnt(1)
	v_add_f32_e32 v10, v12, v10
	ds_bpermute_b32 v11, v4, v10
	s_waitcnt lgkmcnt(0)
	v_add_f32_e32 v10, v10, v11
	ds_bpermute_b32 v11, v5, v10
	;; [unrolled: 3-line block ×4, first 2 shown]
	s_and_saveexec_b64 s[2:3], vcc
	s_cbranch_execz .LBB17_21
; %bb.20:
	s_waitcnt lgkmcnt(0)
	v_add_f32_e32 v10, v10, v11
	v_add_u32_e32 v0, 0, v0
	ds_write_b32 v0, v10
.LBB17_21:
	s_or_b64 exec, exec, s[2:3]
	v_mov_b32_e32 v0, 0
	s_waitcnt lgkmcnt(0)
	s_barrier
	s_and_saveexec_b64 s[2:3], s[0:1]
; %bb.22:
	ds_read_b32 v0, v8
; %bb.23:
	s_or_b64 exec, exec, s[2:3]
	s_waitcnt lgkmcnt(0)
	ds_bpermute_b32 v3, v3, v0
	s_lshl_b64 s[0:1], s[8:9], 9
	s_andn2_b64 vcc, exec, s[4:5]
	s_waitcnt lgkmcnt(0)
	v_add_f32_e32 v0, v0, v3
	ds_bpermute_b32 v3, v4, v0
	s_waitcnt lgkmcnt(0)
	v_add_f32_e32 v0, v0, v3
	ds_bpermute_b32 v3, v5, v0
	;; [unrolled: 3-line block ×4, first 2 shown]
	s_waitcnt lgkmcnt(0)
	v_add_f32_e32 v0, v0, v3
	s_cbranch_vccnz .LBB17_25
; %bb.24:
	s_lshl_b64 s[2:3], s[10:11], 2
	s_add_u32 s2, s24, s2
	s_addc_u32 s3, s25, s3
	s_load_dword s2, s[2:3], 0x0
	s_mov_b32 s3, 0x3fb8aa3b
	s_waitcnt lgkmcnt(0)
	v_sub_f32_e32 v3, s2, v9
	v_mul_f32_e32 v4, 0x3fb8aa3b, v3
	v_fma_f32 v5, v3, s3, -v4
	v_rndne_f32_e32 v6, v4
	v_fmac_f32_e32 v5, 0x32a5705f, v3
	v_sub_f32_e32 v4, v4, v6
	v_add_f32_e32 v4, v4, v5
	v_cvt_i32_f32_e32 v6, v6
	v_exp_f32_e32 v4, v4
	s_mov_b32 s2, 0xc2ce8ed0
	s_mov_b32 s3, 0x42b17218
	v_cmp_ngt_f32_e32 vcc, s2, v3
	v_ldexp_f32 v4, v4, v6
	v_cndmask_b32_e32 v4, 0, v4, vcc
	v_mov_b32_e32 v5, 0x7f800000
	v_cmp_nlt_f32_e32 vcc, s3, v3
	v_cndmask_b32_e32 v3, v5, v4, vcc
	v_add_f32_e32 v0, v0, v3
.LBB17_25:
	v_div_scale_f32 v3, s[2:3], v0, v0, 1.0
	v_div_scale_f32 v4, vcc, 1.0, v0, 1.0
	ds_read_b32 v2, v2 offset:128
	s_lshl_b64 s[0:1], s[0:1], 2
	s_add_u32 s0, s26, s0
	s_addc_u32 s1, s27, s1
	v_rcp_f32_e32 v5, v3
	v_fma_f32 v6, -v3, v5, 1.0
	v_fmac_f32_e32 v5, v6, v5
	v_mul_f32_e32 v6, v4, v5
	v_fma_f32 v7, -v3, v6, v4
	v_fmac_f32_e32 v6, v7, v5
	v_fma_f32 v3, -v3, v6, v4
	v_div_fmas_f32 v3, v3, v5, v6
	v_div_fixup_f32 v0, v3, v0, 1.0
	s_waitcnt lgkmcnt(0)
	v_mul_f32_e32 v0, v0, v2
	global_store_dword v1, v0, s[0:1]
	s_endpgm
	.section	.rodata,"a",@progbits
	.p2align	6, 0x0
	.amdhsa_kernel _ZL12soft_max_f32ILb1ELi512ELi512EfEvPKfPKT2_S1_Pf15soft_max_params
		.amdhsa_group_segment_fixed_size 0
		.amdhsa_private_segment_fixed_size 0
		.amdhsa_kernarg_size 416
		.amdhsa_user_sgpr_count 6
		.amdhsa_user_sgpr_private_segment_buffer 1
		.amdhsa_user_sgpr_dispatch_ptr 0
		.amdhsa_user_sgpr_queue_ptr 0
		.amdhsa_user_sgpr_kernarg_segment_ptr 1
		.amdhsa_user_sgpr_dispatch_id 0
		.amdhsa_user_sgpr_flat_scratch_init 0
		.amdhsa_user_sgpr_private_segment_size 0
		.amdhsa_uses_dynamic_stack 0
		.amdhsa_system_sgpr_private_segment_wavefront_offset 0
		.amdhsa_system_sgpr_workgroup_id_x 1
		.amdhsa_system_sgpr_workgroup_id_y 1
		.amdhsa_system_sgpr_workgroup_id_z 1
		.amdhsa_system_sgpr_workgroup_info 0
		.amdhsa_system_vgpr_workitem_id 0
		.amdhsa_next_free_vgpr 14
		.amdhsa_next_free_sgpr 36
		.amdhsa_reserve_vcc 1
		.amdhsa_reserve_flat_scratch 0
		.amdhsa_float_round_mode_32 0
		.amdhsa_float_round_mode_16_64 0
		.amdhsa_float_denorm_mode_32 3
		.amdhsa_float_denorm_mode_16_64 3
		.amdhsa_dx10_clamp 1
		.amdhsa_ieee_mode 1
		.amdhsa_fp16_overflow 0
		.amdhsa_exception_fp_ieee_invalid_op 0
		.amdhsa_exception_fp_denorm_src 0
		.amdhsa_exception_fp_ieee_div_zero 0
		.amdhsa_exception_fp_ieee_overflow 0
		.amdhsa_exception_fp_ieee_underflow 0
		.amdhsa_exception_fp_ieee_inexact 0
		.amdhsa_exception_int_div_zero 0
	.end_amdhsa_kernel
	.section	.text._ZL12soft_max_f32ILb1ELi512ELi512EfEvPKfPKT2_S1_Pf15soft_max_params,"axG",@progbits,_ZL12soft_max_f32ILb1ELi512ELi512EfEvPKfPKT2_S1_Pf15soft_max_params,comdat
.Lfunc_end17:
	.size	_ZL12soft_max_f32ILb1ELi512ELi512EfEvPKfPKT2_S1_Pf15soft_max_params, .Lfunc_end17-_ZL12soft_max_f32ILb1ELi512ELi512EfEvPKfPKT2_S1_Pf15soft_max_params
                                        ; -- End function
	.set _ZL12soft_max_f32ILb1ELi512ELi512EfEvPKfPKT2_S1_Pf15soft_max_params.num_vgpr, 14
	.set _ZL12soft_max_f32ILb1ELi512ELi512EfEvPKfPKT2_S1_Pf15soft_max_params.num_agpr, 0
	.set _ZL12soft_max_f32ILb1ELi512ELi512EfEvPKfPKT2_S1_Pf15soft_max_params.numbered_sgpr, 36
	.set _ZL12soft_max_f32ILb1ELi512ELi512EfEvPKfPKT2_S1_Pf15soft_max_params.num_named_barrier, 0
	.set _ZL12soft_max_f32ILb1ELi512ELi512EfEvPKfPKT2_S1_Pf15soft_max_params.private_seg_size, 0
	.set _ZL12soft_max_f32ILb1ELi512ELi512EfEvPKfPKT2_S1_Pf15soft_max_params.uses_vcc, 1
	.set _ZL12soft_max_f32ILb1ELi512ELi512EfEvPKfPKT2_S1_Pf15soft_max_params.uses_flat_scratch, 0
	.set _ZL12soft_max_f32ILb1ELi512ELi512EfEvPKfPKT2_S1_Pf15soft_max_params.has_dyn_sized_stack, 0
	.set _ZL12soft_max_f32ILb1ELi512ELi512EfEvPKfPKT2_S1_Pf15soft_max_params.has_recursion, 0
	.set _ZL12soft_max_f32ILb1ELi512ELi512EfEvPKfPKT2_S1_Pf15soft_max_params.has_indirect_call, 0
	.section	.AMDGPU.csdata,"",@progbits
; Kernel info:
; codeLenInByte = 3584
; TotalNumSgprs: 40
; NumVgprs: 14
; ScratchSize: 0
; MemoryBound: 0
; FloatMode: 240
; IeeeMode: 1
; LDSByteSize: 0 bytes/workgroup (compile time only)
; SGPRBlocks: 4
; VGPRBlocks: 3
; NumSGPRsForWavesPerEU: 40
; NumVGPRsForWavesPerEU: 14
; Occupancy: 10
; WaveLimiterHint : 1
; COMPUTE_PGM_RSRC2:SCRATCH_EN: 0
; COMPUTE_PGM_RSRC2:USER_SGPR: 6
; COMPUTE_PGM_RSRC2:TRAP_HANDLER: 0
; COMPUTE_PGM_RSRC2:TGID_X_EN: 1
; COMPUTE_PGM_RSRC2:TGID_Y_EN: 1
; COMPUTE_PGM_RSRC2:TGID_Z_EN: 1
; COMPUTE_PGM_RSRC2:TIDIG_COMP_CNT: 0
	.section	.text._ZL12soft_max_f32ILb1ELi256ELi256EfEvPKfPKT2_S1_Pf15soft_max_params,"axG",@progbits,_ZL12soft_max_f32ILb1ELi256ELi256EfEvPKfPKT2_S1_Pf15soft_max_params,comdat
	.globl	_ZL12soft_max_f32ILb1ELi256ELi256EfEvPKfPKT2_S1_Pf15soft_max_params ; -- Begin function _ZL12soft_max_f32ILb1ELi256ELi256EfEvPKfPKT2_S1_Pf15soft_max_params
	.p2align	8
	.type	_ZL12soft_max_f32ILb1ELi256ELi256EfEvPKfPKT2_S1_Pf15soft_max_params,@function
_ZL12soft_max_f32ILb1ELi256ELi256EfEvPKfPKT2_S1_Pf15soft_max_params: ; @_ZL12soft_max_f32ILb1ELi256ELi256EfEvPKfPKT2_S1_Pf15soft_max_params
; %bb.0:
	s_load_dwordx8 s[12:19], s[4:5], 0x68
	s_load_dwordx2 s[0:1], s[4:5], 0x88
	s_mov_b32 s11, 0
	s_mov_b32 s2, s11
	;; [unrolled: 1-line block ×3, first 2 shown]
	s_waitcnt lgkmcnt(0)
	s_mov_b32 s3, s19
	s_cmp_lg_u64 s[2:3], 0
	s_cbranch_scc0 .LBB18_10
; %bb.1:
	s_ashr_i32 s2, s19, 31
	s_add_u32 s20, s18, s2
	s_mov_b32 s3, s2
	s_addc_u32 s21, s19, s2
	s_xor_b64 s[20:21], s[20:21], s[2:3]
	v_cvt_f32_u32_e32 v1, s20
	v_cvt_f32_u32_e32 v2, s21
	s_sub_u32 s7, 0, s20
	s_subb_u32 s9, 0, s21
	v_madmk_f32 v1, v2, 0x4f800000, v1
	v_rcp_f32_e32 v1, v1
	v_mul_f32_e32 v1, 0x5f7ffffc, v1
	v_mul_f32_e32 v2, 0x2f800000, v1
	v_trunc_f32_e32 v2, v2
	v_madmk_f32 v1, v2, 0xcf800000, v1
	v_cvt_u32_f32_e32 v2, v2
	v_cvt_u32_f32_e32 v1, v1
	v_readfirstlane_b32 s19, v2
	v_readfirstlane_b32 s22, v1
	s_mul_i32 s23, s7, s19
	s_mul_hi_u32 s25, s7, s22
	s_mul_i32 s24, s9, s22
	s_add_i32 s23, s25, s23
	s_add_i32 s23, s23, s24
	s_mul_i32 s26, s7, s22
	s_mul_i32 s25, s22, s23
	s_mul_hi_u32 s27, s22, s26
	s_mul_hi_u32 s24, s22, s23
	s_add_u32 s25, s27, s25
	s_addc_u32 s24, 0, s24
	s_mul_hi_u32 s28, s19, s26
	s_mul_i32 s26, s19, s26
	s_add_u32 s25, s25, s26
	s_mul_hi_u32 s27, s19, s23
	s_addc_u32 s24, s24, s28
	s_addc_u32 s25, s27, 0
	s_mul_i32 s23, s19, s23
	s_add_u32 s23, s24, s23
	s_addc_u32 s24, 0, s25
	s_add_u32 s25, s22, s23
	s_cselect_b64 s[22:23], -1, 0
	s_cmp_lg_u64 s[22:23], 0
	s_addc_u32 s19, s19, s24
	s_mul_i32 s22, s7, s19
	s_mul_hi_u32 s23, s7, s25
	s_add_i32 s22, s23, s22
	s_mul_i32 s9, s9, s25
	s_add_i32 s22, s22, s9
	s_mul_i32 s7, s7, s25
	s_mul_hi_u32 s23, s19, s7
	s_mul_i32 s24, s19, s7
	s_mul_i32 s27, s25, s22
	s_mul_hi_u32 s7, s25, s7
	s_mul_hi_u32 s26, s25, s22
	s_add_u32 s7, s7, s27
	s_addc_u32 s26, 0, s26
	s_add_u32 s7, s7, s24
	s_mul_hi_u32 s9, s19, s22
	s_addc_u32 s7, s26, s23
	s_addc_u32 s9, s9, 0
	s_mul_i32 s22, s19, s22
	s_add_u32 s7, s7, s22
	s_addc_u32 s9, 0, s9
	s_add_u32 s7, s25, s7
	s_cselect_b64 s[22:23], -1, 0
	s_cmp_lg_u64 s[22:23], 0
	s_addc_u32 s9, s19, s9
	s_add_u32 s22, s10, 0
	s_addc_u32 s23, 0, 0
	s_xor_b64 s[22:23], s[22:23], 0
	s_mul_i32 s24, s22, s9
	s_mul_hi_u32 s25, s22, s7
	s_mul_hi_u32 s19, s22, s9
	s_add_u32 s24, s25, s24
	s_addc_u32 s19, 0, s19
	s_mul_hi_u32 s26, s23, s7
	s_mul_i32 s7, s23, s7
	s_add_u32 s7, s24, s7
	s_mul_hi_u32 s25, s23, s9
	s_addc_u32 s7, s19, s26
	s_addc_u32 s19, s25, 0
	s_mul_i32 s9, s23, s9
	s_add_u32 s7, s7, s9
	s_addc_u32 s9, 0, s19
	s_mul_i32 s9, s20, s9
	s_mul_hi_u32 s19, s20, s7
	s_add_i32 s9, s19, s9
	s_mul_i32 s19, s21, s7
	s_add_i32 s9, s9, s19
	s_sub_i32 s19, s23, s9
	s_mul_i32 s7, s20, s7
	s_sub_u32 s7, s22, s7
	s_cselect_b64 s[24:25], -1, 0
	s_cmp_lg_u64 s[24:25], 0
	s_subb_u32 s19, s19, s21
	s_sub_u32 s22, s7, s20
	s_cselect_b64 s[26:27], -1, 0
	s_cmp_lg_u64 s[26:27], 0
	s_subb_u32 s28, s19, 0
	s_cmp_ge_u32 s28, s21
	s_cselect_b32 s29, -1, 0
	s_cmp_ge_u32 s22, s20
	s_cselect_b32 s30, -1, 0
	s_cmp_eq_u32 s28, s21
	s_cselect_b32 s29, s30, s29
	s_cmp_lg_u64 s[26:27], 0
	s_subb_u32 s19, s19, s21
	s_sub_u32 s30, s22, s20
	s_cselect_b64 s[26:27], -1, 0
	s_cmp_lg_u64 s[26:27], 0
	s_subb_u32 s19, s19, 0
	s_cmp_lg_u32 s29, 0
	s_cselect_b32 s22, s30, s22
	s_cselect_b32 s19, s19, s28
	s_cmp_lg_u64 s[24:25], 0
	s_subb_u32 s9, s23, s9
	s_cmp_ge_u32 s9, s21
	s_cselect_b32 s23, -1, 0
	s_cmp_ge_u32 s7, s20
	s_cselect_b32 s20, -1, 0
	s_cmp_eq_u32 s9, s21
	s_cselect_b32 s20, s20, s23
	s_cmp_lg_u32 s20, 0
	s_cselect_b32 s21, s19, s9
	s_cselect_b32 s20, s22, s7
	s_xor_b64 s[20:21], s[20:21], 0
	s_sub_u32 s28, s20, 0
	s_subb_u32 s29, s21, 0
	s_cbranch_execnz .LBB18_3
.LBB18_2:
	v_cvt_f32_u32_e32 v1, s18
	s_sub_i32 s2, 0, s18
	s_mov_b32 s29, 0
	v_rcp_iflag_f32_e32 v1, v1
	v_mul_f32_e32 v1, 0x4f7ffffe, v1
	v_cvt_u32_f32_e32 v1, v1
	v_readfirstlane_b32 s3, v1
	s_mul_i32 s2, s2, s3
	s_mul_hi_u32 s2, s3, s2
	s_add_i32 s3, s3, s2
	s_mul_hi_u32 s2, s10, s3
	s_mul_i32 s2, s2, s18
	s_sub_i32 s2, s10, s2
	s_sub_i32 s3, s2, s18
	s_cmp_ge_u32 s2, s18
	s_cselect_b32 s2, s3, s2
	s_sub_i32 s3, s2, s18
	s_cmp_ge_u32 s2, s18
	s_cselect_b32 s28, s3, s2
.LBB18_3:
	s_load_dwordx2 s[18:19], s[4:5], 0x90
	s_mov_b32 s2, 0
	s_mov_b32 s3, s1
	s_cmp_lg_u64 s[2:3], 0
	s_cbranch_scc0 .LBB18_11
; %bb.4:
	s_ashr_i32 s2, s1, 31
	s_add_u32 s20, s0, s2
	s_mov_b32 s3, s2
	s_addc_u32 s21, s1, s2
	s_xor_b64 s[20:21], s[20:21], s[2:3]
	v_cvt_f32_u32_e32 v1, s20
	v_cvt_f32_u32_e32 v2, s21
	s_sub_u32 s1, 0, s20
	s_subb_u32 s7, 0, s21
	v_madmk_f32 v1, v2, 0x4f800000, v1
	v_rcp_f32_e32 v1, v1
	v_mul_f32_e32 v1, 0x5f7ffffc, v1
	v_mul_f32_e32 v2, 0x2f800000, v1
	v_trunc_f32_e32 v2, v2
	v_madmk_f32 v1, v2, 0xcf800000, v1
	v_cvt_u32_f32_e32 v2, v2
	v_cvt_u32_f32_e32 v1, v1
	v_readfirstlane_b32 s9, v2
	v_readfirstlane_b32 s22, v1
	s_mul_i32 s23, s1, s9
	s_mul_hi_u32 s25, s1, s22
	s_mul_i32 s24, s7, s22
	s_add_i32 s23, s25, s23
	s_add_i32 s23, s23, s24
	s_mul_i32 s26, s1, s22
	s_mul_i32 s25, s22, s23
	s_mul_hi_u32 s27, s22, s26
	s_mul_hi_u32 s24, s22, s23
	s_add_u32 s25, s27, s25
	s_addc_u32 s24, 0, s24
	s_mul_hi_u32 s30, s9, s26
	s_mul_i32 s26, s9, s26
	s_add_u32 s25, s25, s26
	s_mul_hi_u32 s27, s9, s23
	s_addc_u32 s24, s24, s30
	s_addc_u32 s25, s27, 0
	s_mul_i32 s23, s9, s23
	s_add_u32 s23, s24, s23
	s_addc_u32 s24, 0, s25
	s_add_u32 s25, s22, s23
	s_cselect_b64 s[22:23], -1, 0
	s_cmp_lg_u64 s[22:23], 0
	s_addc_u32 s9, s9, s24
	s_mul_i32 s22, s1, s9
	s_mul_hi_u32 s23, s1, s25
	s_add_i32 s22, s23, s22
	s_mul_i32 s7, s7, s25
	s_add_i32 s22, s22, s7
	s_mul_i32 s1, s1, s25
	s_mul_hi_u32 s23, s9, s1
	s_mul_i32 s24, s9, s1
	s_mul_i32 s27, s25, s22
	s_mul_hi_u32 s1, s25, s1
	s_mul_hi_u32 s26, s25, s22
	s_add_u32 s1, s1, s27
	s_addc_u32 s26, 0, s26
	s_add_u32 s1, s1, s24
	s_mul_hi_u32 s7, s9, s22
	s_addc_u32 s1, s26, s23
	s_addc_u32 s7, s7, 0
	s_mul_i32 s22, s9, s22
	s_add_u32 s1, s1, s22
	s_addc_u32 s7, 0, s7
	s_add_u32 s1, s25, s1
	s_cselect_b64 s[22:23], -1, 0
	s_cmp_lg_u64 s[22:23], 0
	s_addc_u32 s7, s9, s7
	s_add_u32 s22, s8, 0
	s_addc_u32 s23, 0, 0
	s_xor_b64 s[22:23], s[22:23], 0
	s_mul_i32 s24, s22, s7
	s_mul_hi_u32 s25, s22, s1
	s_mul_hi_u32 s9, s22, s7
	s_add_u32 s24, s25, s24
	s_addc_u32 s9, 0, s9
	s_mul_hi_u32 s26, s23, s1
	s_mul_i32 s1, s23, s1
	s_add_u32 s1, s24, s1
	s_mul_hi_u32 s25, s23, s7
	s_addc_u32 s1, s9, s26
	s_addc_u32 s9, s25, 0
	s_mul_i32 s7, s23, s7
	s_add_u32 s1, s1, s7
	s_addc_u32 s7, 0, s9
	s_mul_i32 s7, s20, s7
	s_mul_hi_u32 s9, s20, s1
	s_add_i32 s7, s9, s7
	s_mul_i32 s9, s21, s1
	s_add_i32 s7, s7, s9
	s_sub_i32 s9, s23, s7
	s_mul_i32 s1, s20, s1
	s_sub_u32 s1, s22, s1
	s_cselect_b64 s[24:25], -1, 0
	s_cmp_lg_u64 s[24:25], 0
	s_subb_u32 s9, s9, s21
	s_sub_u32 s22, s1, s20
	s_cselect_b64 s[26:27], -1, 0
	s_cmp_lg_u64 s[26:27], 0
	s_subb_u32 s30, s9, 0
	s_cmp_ge_u32 s30, s21
	s_cselect_b32 s31, -1, 0
	s_cmp_ge_u32 s22, s20
	s_cselect_b32 s33, -1, 0
	s_cmp_eq_u32 s30, s21
	s_cselect_b32 s31, s33, s31
	s_cmp_lg_u64 s[26:27], 0
	s_subb_u32 s9, s9, s21
	s_sub_u32 s33, s22, s20
	s_cselect_b64 s[26:27], -1, 0
	s_cmp_lg_u64 s[26:27], 0
	s_subb_u32 s9, s9, 0
	s_cmp_lg_u32 s31, 0
	s_cselect_b32 s22, s33, s22
	s_cselect_b32 s9, s9, s30
	s_cmp_lg_u64 s[24:25], 0
	s_subb_u32 s7, s23, s7
	s_cmp_ge_u32 s7, s21
	s_cselect_b32 s23, -1, 0
	s_cmp_ge_u32 s1, s20
	s_cselect_b32 s20, -1, 0
	s_cmp_eq_u32 s7, s21
	s_cselect_b32 s20, s20, s23
	s_cmp_lg_u32 s20, 0
	s_cselect_b32 s21, s9, s7
	s_cselect_b32 s20, s22, s1
	s_xor_b64 s[20:21], s[20:21], 0
	s_sub_u32 s30, s20, 0
	s_subb_u32 s31, s21, 0
	s_cbranch_execnz .LBB18_6
.LBB18_5:
	v_cvt_f32_u32_e32 v1, s0
	s_sub_i32 s1, 0, s0
	s_mov_b32 s31, 0
	v_rcp_iflag_f32_e32 v1, v1
	v_mul_f32_e32 v1, 0x4f7ffffe, v1
	v_cvt_u32_f32_e32 v1, v1
	v_readfirstlane_b32 s2, v1
	s_mul_i32 s1, s1, s2
	s_mul_hi_u32 s1, s2, s1
	s_add_i32 s2, s2, s1
	s_mul_hi_u32 s1, s8, s2
	s_mul_i32 s1, s1, s0
	s_sub_i32 s1, s8, s1
	s_sub_i32 s2, s1, s0
	s_cmp_ge_u32 s1, s0
	s_cselect_b32 s1, s2, s1
	s_sub_i32 s2, s1, s0
	s_cmp_ge_u32 s1, s0
	s_cselect_b32 s30, s2, s1
.LBB18_6:
	s_load_dwordx2 s[34:35], s[4:5], 0xa0
	s_waitcnt lgkmcnt(0)
	v_cmp_le_f32_e64 s[0:1], s19, 0
	s_and_b64 vcc, exec, s[0:1]
	v_mov_b32_e32 v2, 1.0
	s_cbranch_vccnz .LBB18_8
; %bb.7:
	s_load_dword s2, s[4:5], 0x28
	s_load_dwordx2 s[0:1], s[4:5], 0x98
	s_add_i32 s3, s10, 1
	s_waitcnt lgkmcnt(0)
	s_sub_i32 s7, s10, s2
	v_mov_b32_e32 v2, s0
	s_lshl_b32 s0, s7, 1
	s_or_b32 s7, s0, 1
	s_cmp_lt_u32 s10, s2
	s_cselect_b64 vcc, -1, 0
	v_mov_b32_e32 v1, s1
	s_and_b64 s[0:1], vcc, exec
	s_cselect_b32 s0, s3, s7
	v_cndmask_b32_e32 v1, v1, v2, vcc
	v_cvt_f32_i32_e32 v2, s0
	v_cmp_neq_f32_e32 vcc, 1.0, v1
	s_mov_b32 s0, 0x3f2aaaab
	s_movk_i32 s2, 0x204
	v_cndmask_b32_e32 v2, 1.0, v2, vcc
	v_cmp_neq_f32_e32 vcc, 0, v2
	v_cndmask_b32_e32 v1, 1.0, v1, vcc
	v_frexp_mant_f32_e64 v3, |v1|
	v_cmp_gt_f32_e32 vcc, s0, v3
	v_cndmask_b32_e64 v4, 1.0, 2.0, vcc
	v_mul_f32_e32 v3, v3, v4
	v_add_f32_e32 v4, 1.0, v3
	v_rcp_f32_e32 v5, v4
	v_add_f32_e32 v6, -1.0, v3
	v_add_f32_e32 v7, -1.0, v4
	v_sub_f32_e32 v3, v3, v7
	v_mul_f32_e32 v7, v6, v5
	v_mul_f32_e32 v8, v4, v7
	v_fma_f32 v4, v7, v4, -v8
	v_fmac_f32_e32 v4, v7, v3
	v_add_f32_e32 v3, v8, v4
	v_sub_f32_e32 v9, v6, v3
	v_sub_f32_e32 v8, v3, v8
	;; [unrolled: 1-line block ×5, first 2 shown]
	v_add_f32_e32 v3, v4, v3
	v_add_f32_e32 v3, v9, v3
	v_mul_f32_e32 v3, v5, v3
	v_add_f32_e32 v5, v7, v3
	v_sub_f32_e32 v4, v5, v7
	v_sub_f32_e32 v6, v3, v4
	v_mul_f32_e32 v3, v5, v5
	v_fma_f32 v4, v5, v5, -v3
	v_add_f32_e32 v7, v6, v6
	v_fmac_f32_e32 v4, v5, v7
	v_add_f32_e32 v7, v3, v4
	v_mov_b32_e32 v8, 0x3e91f4c4
	v_sub_f32_e32 v3, v7, v3
	v_fmac_f32_e32 v8, 0x3e76c4e1, v7
	v_mov_b32_e32 v9, 0x3ecccdef
	v_sub_f32_e32 v3, v4, v3
	v_mul_f32_e32 v4, v5, v7
	v_fmac_f32_e32 v9, v7, v8
	v_fma_f32 v8, v7, v5, -v4
	v_fmac_f32_e32 v8, v7, v6
	v_fmac_f32_e32 v8, v3, v5
	v_add_f32_e32 v10, v4, v8
	v_sub_f32_e32 v4, v10, v4
	v_sub_f32_e32 v8, v8, v4
	v_mul_f32_e32 v4, v7, v9
	v_fma_f32 v7, v7, v9, -v4
	v_fmac_f32_e32 v7, v3, v9
	v_add_f32_e32 v9, v4, v7
	v_sub_f32_e32 v3, v9, v4
	v_sub_f32_e32 v7, v7, v3
	v_cvt_f64_f32_e64 v[3:4], |v1|
	v_add_f32_e32 v11, 0x3f2aaaaa, v9
	v_add_f32_e32 v12, 0xbf2aaaaa, v11
	;; [unrolled: 1-line block ×3, first 2 shown]
	v_frexp_exp_i32_f64_e32 v3, v[3:4]
	v_sub_f32_e32 v9, v9, v12
	v_add_f32_e32 v4, v7, v9
	v_add_f32_e32 v7, v11, v4
	v_sub_f32_e32 v9, v11, v7
	v_add_f32_e32 v4, v4, v9
	v_mul_f32_e32 v9, v10, v7
	v_fma_f32 v11, v10, v7, -v9
	v_subbrev_co_u32_e32 v3, vcc, 0, v3, vcc
	v_cvt_f32_i32_e32 v3, v3
	v_fmac_f32_e32 v11, v10, v4
	s_mov_b32 s0, 0x3f317218
	v_fmac_f32_e32 v11, v8, v7
	v_mul_f32_e32 v4, 0x3f317218, v3
	v_fma_f32 v7, v3, s0, -v4
	v_fmac_f32_e32 v7, 0xb102e308, v3
	v_ldexp_f32 v3, v6, 1
	v_add_f32_e32 v6, v4, v7
	v_sub_f32_e32 v4, v6, v4
	v_ldexp_f32 v5, v5, 1
	v_sub_f32_e32 v4, v7, v4
	v_add_f32_e32 v7, v9, v11
	v_sub_f32_e32 v8, v7, v9
	v_add_f32_e32 v9, v5, v7
	v_sub_f32_e32 v8, v11, v8
	v_sub_f32_e32 v5, v9, v5
	;; [unrolled: 1-line block ×3, first 2 shown]
	v_add_f32_e32 v3, v3, v8
	v_add_f32_e32 v3, v3, v5
	;; [unrolled: 1-line block ×3, first 2 shown]
	v_sub_f32_e32 v7, v5, v9
	v_sub_f32_e32 v3, v3, v7
	v_add_f32_e32 v7, v6, v5
	v_sub_f32_e32 v8, v7, v6
	v_sub_f32_e32 v9, v7, v8
	;; [unrolled: 1-line block ×4, first 2 shown]
	v_add_f32_e32 v5, v5, v6
	v_add_f32_e32 v6, v4, v3
	v_sub_f32_e32 v8, v6, v4
	v_sub_f32_e32 v9, v6, v8
	;; [unrolled: 1-line block ×4, first 2 shown]
	v_add_f32_e32 v3, v3, v4
	v_add_f32_e32 v4, v6, v5
	;; [unrolled: 1-line block ×3, first 2 shown]
	v_sub_f32_e32 v6, v5, v7
	v_sub_f32_e32 v4, v4, v6
	v_add_f32_e32 v3, v3, v4
	v_add_f32_e32 v4, v5, v3
	v_sub_f32_e32 v5, v4, v5
	v_sub_f32_e32 v3, v3, v5
	v_mul_f32_e32 v5, v2, v4
	v_fma_f32 v4, v2, v4, -v5
	v_fmac_f32_e32 v4, v2, v3
	v_add_f32_e32 v3, v5, v4
	v_cmp_class_f32_e64 vcc, v5, s2
	v_sub_f32_e32 v6, v3, v5
	v_cndmask_b32_e32 v3, v3, v5, vcc
	s_mov_b32 s1, 0x42b17218
	v_mov_b32_e32 v5, 0x37000000
	v_cmp_eq_f32_e32 vcc, s1, v3
	v_cndmask_b32_e32 v5, 0, v5, vcc
	v_sub_f32_e32 v4, v4, v6
	v_sub_f32_e32 v6, v3, v5
	s_mov_b32 s3, 0x3fb8aa3b
	v_mul_f32_e32 v7, 0x3fb8aa3b, v6
	v_fma_f32 v8, v6, s3, -v7
	v_rndne_f32_e32 v9, v7
	v_fmac_f32_e32 v8, 0x32a5705f, v6
	v_sub_f32_e32 v7, v7, v9
	v_add_f32_e32 v7, v7, v8
	v_exp_f32_e32 v7, v7
	v_cvt_i32_f32_e32 v8, v9
	s_mov_b32 s0, 0x7f800000
	v_cmp_neq_f32_e64 vcc, |v3|, s0
	s_mov_b32 s0, 0xc2ce8ed0
	v_cndmask_b32_e32 v3, 0, v4, vcc
	v_ldexp_f32 v4, v7, v8
	v_cmp_ngt_f32_e32 vcc, s0, v6
	v_add_f32_e32 v3, v5, v3
	v_cndmask_b32_e32 v4, 0, v4, vcc
	v_mov_b32_e32 v5, 0x7f800000
	v_cmp_nlt_f32_e32 vcc, s1, v6
	v_cndmask_b32_e32 v4, v5, v4, vcc
	v_fma_f32 v3, v4, v3, v4
	v_cmp_class_f32_e64 vcc, v4, s2
	v_cndmask_b32_e32 v3, v3, v4, vcc
	v_trunc_f32_e32 v4, v2
	v_cmp_eq_f32_e32 vcc, v4, v2
	v_mul_f32_e32 v4, 0.5, v2
	v_trunc_f32_e32 v7, v4
	v_cmp_neq_f32_e64 s[0:1], v7, v4
	s_and_b64 s[0:1], vcc, s[0:1]
	v_cndmask_b32_e64 v4, 1.0, v1, s[0:1]
	s_brev_b32 s7, -2
	v_mov_b32_e32 v6, 0x7fc00000
	v_bfi_b32 v3, s7, v3, v4
	v_cndmask_b32_e32 v4, v6, v3, vcc
	v_cmp_gt_f32_e32 vcc, 0, v1
	v_cndmask_b32_e32 v3, v3, v4, vcc
	v_cmp_class_f32_e64 s[20:21], v1, s2
	v_cmp_eq_f32_e32 vcc, 0, v1
	v_cmp_gt_f32_e64 s[2:3], 0, v2
	s_xor_b64 s[2:3], s[2:3], vcc
	v_cndmask_b32_e64 v2, v5, 0, s[2:3]
	v_cndmask_b32_e64 v4, 0, v1, s[0:1]
	v_bfi_b32 v2, s7, v2, v4
	s_or_b64 vcc, vcc, s[20:21]
	v_cndmask_b32_e32 v2, v3, v2, vcc
	v_cmp_o_f32_e32 vcc, v1, v1
	v_cndmask_b32_e32 v2, v6, v2, vcc
.LBB18_8:
	s_load_dwordx8 s[20:27], s[4:5], 0x0
	s_waitcnt lgkmcnt(0)
	s_cmp_lg_u64 s[24:25], 0
	s_cselect_b64 s[4:5], -1, 0
	s_cmp_eq_u64 s[24:25], 0
	s_cbranch_scc1 .LBB18_12
; %bb.9:
	s_lshl_b64 s[0:1], s[10:11], 2
	s_add_u32 s0, s24, s0
	s_addc_u32 s1, s25, s1
	s_load_dword s2, s[0:1], 0x0
	s_branch .LBB18_13
.LBB18_10:
                                        ; implicit-def: $sgpr28_sgpr29
	s_branch .LBB18_2
.LBB18_11:
                                        ; implicit-def: $sgpr30_sgpr31
	s_branch .LBB18_5
.LBB18_12:
	s_mov_b32 s2, 0xff800000
.LBB18_13:
	s_mul_i32 s0, s35, s8
	s_add_i32 s0, s0, s10
	s_mul_i32 s0, s0, s34
	s_add_i32 s8, s0, s6
	s_ashr_i32 s9, s8, 31
	s_lshl_b64 s[0:1], s[8:9], 10
	s_add_u32 s0, s20, s0
	s_addc_u32 s1, s21, s1
	v_lshlrev_b32_e32 v1, 2, v0
	global_load_dword v3, v1, s[0:1]
	s_cmp_eq_u64 s[22:23], 0
	s_cselect_b64 s[0:1], -1, 0
	s_cmp_lg_u64 s[22:23], 0
	v_mov_b32_e32 v8, 0
	s_cbranch_scc0 .LBB18_15
; %bb.14:
	s_mul_i32 s3, s13, s6
	s_mul_hi_u32 s7, s12, s6
	s_add_i32 s7, s7, s3
	s_mul_i32 s3, s12, s6
	s_mul_i32 s6, s28, s15
	s_mul_hi_u32 s12, s28, s14
	s_add_i32 s6, s12, s6
	s_mul_i32 s12, s29, s14
	s_add_i32 s6, s6, s12
	s_mul_i32 s12, s28, s14
	s_add_u32 s3, s12, s3
	s_addc_u32 s7, s6, s7
	s_mul_i32 s6, s30, s17
	s_mul_hi_u32 s12, s30, s16
	s_add_i32 s6, s12, s6
	s_mul_i32 s12, s31, s16
	s_add_i32 s12, s6, s12
	s_mul_i32 s6, s30, s16
	s_add_u32 s6, s3, s6
	s_addc_u32 s7, s7, s12
	s_lshr_b64 s[6:7], s[6:7], 2
	s_and_b64 s[0:1], s[0:1], exec
	s_cselect_b32 s1, 0, s7
	s_cselect_b32 s0, 0, s6
	s_lshl_b64 s[0:1], s[0:1], 2
	s_add_u32 s0, s22, s0
	s_addc_u32 s1, s23, s1
	global_load_dword v4, v1, s[0:1]
	s_waitcnt vmcnt(0)
	v_mul_f32_e32 v8, v2, v4
.LBB18_15:
	s_waitcnt vmcnt(0)
	v_fmac_f32_e32 v8, s18, v3
	v_mbcnt_lo_u32_b32 v3, -1, 0
	v_mbcnt_hi_u32_b32 v7, -1, v3
	v_and_b32_e32 v3, 0x60, v7
	v_add_u32_e32 v10, 32, v3
	v_xor_b32_e32 v3, 16, v7
	v_cmp_lt_i32_e32 vcc, v3, v10
	s_waitcnt lgkmcnt(0)
	v_max_f32_e64 v2, s2, s2
	v_cndmask_b32_e32 v3, v7, v3, vcc
	v_max_f32_e32 v2, v2, v8
	v_lshlrev_b32_e32 v3, 2, v3
	ds_bpermute_b32 v4, v3, v2
	s_waitcnt lgkmcnt(0)
	v_max_f32_e32 v4, v4, v4
	v_max_f32_e32 v2, v2, v4
	v_xor_b32_e32 v4, 8, v7
	v_cmp_lt_i32_e32 vcc, v4, v10
	v_cndmask_b32_e32 v4, v7, v4, vcc
	v_lshlrev_b32_e32 v4, 2, v4
	ds_bpermute_b32 v5, v4, v2
	s_waitcnt lgkmcnt(0)
	v_max_f32_e32 v5, v5, v5
	v_max_f32_e32 v2, v2, v5
	v_xor_b32_e32 v5, 4, v7
	v_cmp_lt_i32_e32 vcc, v5, v10
	v_cndmask_b32_e32 v5, v7, v5, vcc
	;; [unrolled: 8-line block ×3, first 2 shown]
	v_lshlrev_b32_e32 v6, 2, v2
	ds_bpermute_b32 v11, v6, v9
	v_lshl_add_u32 v2, v0, 2, 0
	ds_write_b32 v2, v8 offset:128
	v_and_b32_e32 v8, 31, v0
	v_lshrrev_b32_e32 v0, 3, v0
	s_waitcnt lgkmcnt(1)
	v_max_f32_e32 v11, v11, v11
	v_max_f32_e32 v9, v9, v11
	v_xor_b32_e32 v11, 1, v7
	v_cmp_lt_i32_e32 vcc, v11, v10
	v_cndmask_b32_e32 v7, v7, v11, vcc
	v_lshlrev_b32_e32 v7, 2, v7
	ds_bpermute_b32 v10, v7, v9
	v_cmp_eq_u32_e32 vcc, 0, v8
	s_and_saveexec_b64 s[0:1], vcc
	s_xor_b64 s[0:1], exec, s[0:1]
	s_cbranch_execz .LBB18_17
; %bb.16:
	s_waitcnt lgkmcnt(0)
	v_max_f32_e32 v10, v10, v10
	v_max_f32_e32 v9, v9, v9
	;; [unrolled: 1-line block ×3, first 2 shown]
	v_add_u32_e32 v10, 0, v0
	ds_write_b32 v10, v9
.LBB18_17:
	s_or_b64 exec, exec, s[0:1]
	v_cmp_gt_u32_e64 s[0:1], 8, v8
	v_mov_b32_e32 v9, 0xff800000
	v_lshl_add_u32 v8, v8, 2, 0
	s_waitcnt lgkmcnt(0)
	s_barrier
	s_and_saveexec_b64 s[2:3], s[0:1]
; %bb.18:
	ds_read_b32 v9, v8
; %bb.19:
	s_or_b64 exec, exec, s[2:3]
	s_waitcnt lgkmcnt(0)
	ds_bpermute_b32 v10, v3, v9
	v_max_f32_e32 v9, v9, v9
	ds_read_b32 v11, v2 offset:128
	s_mov_b32 s2, 0x3fb8aa3b
	s_mov_b32 s6, 0x42b17218
	s_waitcnt lgkmcnt(1)
	v_max_f32_e32 v10, v10, v10
	v_max_f32_e32 v9, v9, v10
	ds_bpermute_b32 v10, v4, v9
	s_waitcnt lgkmcnt(0)
	v_max_f32_e32 v10, v10, v10
	v_max_f32_e32 v9, v9, v10
	ds_bpermute_b32 v10, v5, v9
	;; [unrolled: 4-line block ×4, first 2 shown]
	s_waitcnt lgkmcnt(0)
	v_max_f32_e32 v10, v10, v10
	v_max_f32_e32 v9, v9, v10
	v_sub_f32_e32 v10, v11, v9
	v_mul_f32_e32 v11, 0x3fb8aa3b, v10
	v_fma_f32 v12, v10, s2, -v11
	v_rndne_f32_e32 v13, v11
	v_fmac_f32_e32 v12, 0x32a5705f, v10
	v_sub_f32_e32 v11, v11, v13
	v_add_f32_e32 v11, v11, v12
	v_cvt_i32_f32_e32 v13, v13
	v_exp_f32_e32 v11, v11
	s_mov_b32 s2, 0xc2ce8ed0
	v_cmp_ngt_f32_e64 s[2:3], s2, v10
	v_mov_b32_e32 v12, 0x7f800000
	v_ldexp_f32 v11, v11, v13
	v_cndmask_b32_e64 v11, 0, v11, s[2:3]
	v_cmp_nlt_f32_e64 s[2:3], s6, v10
	v_cndmask_b32_e64 v12, v12, v11, s[2:3]
	ds_bpermute_b32 v10, v3, v12
	ds_write_b32 v2, v12 offset:128
	s_waitcnt lgkmcnt(1)
	v_add_f32_e32 v10, v12, v10
	ds_bpermute_b32 v11, v4, v10
	s_waitcnt lgkmcnt(0)
	v_add_f32_e32 v10, v10, v11
	ds_bpermute_b32 v11, v5, v10
	;; [unrolled: 3-line block ×4, first 2 shown]
	s_and_saveexec_b64 s[2:3], vcc
	s_cbranch_execz .LBB18_21
; %bb.20:
	s_waitcnt lgkmcnt(0)
	v_add_f32_e32 v10, v10, v11
	v_add_u32_e32 v0, 0, v0
	ds_write_b32 v0, v10
.LBB18_21:
	s_or_b64 exec, exec, s[2:3]
	v_mov_b32_e32 v0, 0
	s_waitcnt lgkmcnt(0)
	s_barrier
	s_and_saveexec_b64 s[2:3], s[0:1]
; %bb.22:
	ds_read_b32 v0, v8
; %bb.23:
	s_or_b64 exec, exec, s[2:3]
	s_waitcnt lgkmcnt(0)
	ds_bpermute_b32 v3, v3, v0
	s_lshl_b64 s[0:1], s[8:9], 8
	s_andn2_b64 vcc, exec, s[4:5]
	s_waitcnt lgkmcnt(0)
	v_add_f32_e32 v0, v0, v3
	ds_bpermute_b32 v3, v4, v0
	s_waitcnt lgkmcnt(0)
	v_add_f32_e32 v0, v0, v3
	ds_bpermute_b32 v3, v5, v0
	;; [unrolled: 3-line block ×4, first 2 shown]
	s_waitcnt lgkmcnt(0)
	v_add_f32_e32 v0, v0, v3
	s_cbranch_vccnz .LBB18_25
; %bb.24:
	s_lshl_b64 s[2:3], s[10:11], 2
	s_add_u32 s2, s24, s2
	s_addc_u32 s3, s25, s3
	s_load_dword s2, s[2:3], 0x0
	s_mov_b32 s3, 0x3fb8aa3b
	s_waitcnt lgkmcnt(0)
	v_sub_f32_e32 v3, s2, v9
	v_mul_f32_e32 v4, 0x3fb8aa3b, v3
	v_fma_f32 v5, v3, s3, -v4
	v_rndne_f32_e32 v6, v4
	v_fmac_f32_e32 v5, 0x32a5705f, v3
	v_sub_f32_e32 v4, v4, v6
	v_add_f32_e32 v4, v4, v5
	v_cvt_i32_f32_e32 v6, v6
	v_exp_f32_e32 v4, v4
	s_mov_b32 s2, 0xc2ce8ed0
	s_mov_b32 s3, 0x42b17218
	v_cmp_ngt_f32_e32 vcc, s2, v3
	v_ldexp_f32 v4, v4, v6
	v_cndmask_b32_e32 v4, 0, v4, vcc
	v_mov_b32_e32 v5, 0x7f800000
	v_cmp_nlt_f32_e32 vcc, s3, v3
	v_cndmask_b32_e32 v3, v5, v4, vcc
	v_add_f32_e32 v0, v0, v3
.LBB18_25:
	v_div_scale_f32 v3, s[2:3], v0, v0, 1.0
	v_div_scale_f32 v4, vcc, 1.0, v0, 1.0
	ds_read_b32 v2, v2 offset:128
	s_lshl_b64 s[0:1], s[0:1], 2
	s_add_u32 s0, s26, s0
	s_addc_u32 s1, s27, s1
	v_rcp_f32_e32 v5, v3
	v_fma_f32 v6, -v3, v5, 1.0
	v_fmac_f32_e32 v5, v6, v5
	v_mul_f32_e32 v6, v4, v5
	v_fma_f32 v7, -v3, v6, v4
	v_fmac_f32_e32 v6, v7, v5
	v_fma_f32 v3, -v3, v6, v4
	v_div_fmas_f32 v3, v3, v5, v6
	v_div_fixup_f32 v0, v3, v0, 1.0
	s_waitcnt lgkmcnt(0)
	v_mul_f32_e32 v0, v0, v2
	global_store_dword v1, v0, s[0:1]
	s_endpgm
	.section	.rodata,"a",@progbits
	.p2align	6, 0x0
	.amdhsa_kernel _ZL12soft_max_f32ILb1ELi256ELi256EfEvPKfPKT2_S1_Pf15soft_max_params
		.amdhsa_group_segment_fixed_size 0
		.amdhsa_private_segment_fixed_size 0
		.amdhsa_kernarg_size 416
		.amdhsa_user_sgpr_count 6
		.amdhsa_user_sgpr_private_segment_buffer 1
		.amdhsa_user_sgpr_dispatch_ptr 0
		.amdhsa_user_sgpr_queue_ptr 0
		.amdhsa_user_sgpr_kernarg_segment_ptr 1
		.amdhsa_user_sgpr_dispatch_id 0
		.amdhsa_user_sgpr_flat_scratch_init 0
		.amdhsa_user_sgpr_private_segment_size 0
		.amdhsa_uses_dynamic_stack 0
		.amdhsa_system_sgpr_private_segment_wavefront_offset 0
		.amdhsa_system_sgpr_workgroup_id_x 1
		.amdhsa_system_sgpr_workgroup_id_y 1
		.amdhsa_system_sgpr_workgroup_id_z 1
		.amdhsa_system_sgpr_workgroup_info 0
		.amdhsa_system_vgpr_workitem_id 0
		.amdhsa_next_free_vgpr 14
		.amdhsa_next_free_sgpr 36
		.amdhsa_reserve_vcc 1
		.amdhsa_reserve_flat_scratch 0
		.amdhsa_float_round_mode_32 0
		.amdhsa_float_round_mode_16_64 0
		.amdhsa_float_denorm_mode_32 3
		.amdhsa_float_denorm_mode_16_64 3
		.amdhsa_dx10_clamp 1
		.amdhsa_ieee_mode 1
		.amdhsa_fp16_overflow 0
		.amdhsa_exception_fp_ieee_invalid_op 0
		.amdhsa_exception_fp_denorm_src 0
		.amdhsa_exception_fp_ieee_div_zero 0
		.amdhsa_exception_fp_ieee_overflow 0
		.amdhsa_exception_fp_ieee_underflow 0
		.amdhsa_exception_fp_ieee_inexact 0
		.amdhsa_exception_int_div_zero 0
	.end_amdhsa_kernel
	.section	.text._ZL12soft_max_f32ILb1ELi256ELi256EfEvPKfPKT2_S1_Pf15soft_max_params,"axG",@progbits,_ZL12soft_max_f32ILb1ELi256ELi256EfEvPKfPKT2_S1_Pf15soft_max_params,comdat
.Lfunc_end18:
	.size	_ZL12soft_max_f32ILb1ELi256ELi256EfEvPKfPKT2_S1_Pf15soft_max_params, .Lfunc_end18-_ZL12soft_max_f32ILb1ELi256ELi256EfEvPKfPKT2_S1_Pf15soft_max_params
                                        ; -- End function
	.set _ZL12soft_max_f32ILb1ELi256ELi256EfEvPKfPKT2_S1_Pf15soft_max_params.num_vgpr, 14
	.set _ZL12soft_max_f32ILb1ELi256ELi256EfEvPKfPKT2_S1_Pf15soft_max_params.num_agpr, 0
	.set _ZL12soft_max_f32ILb1ELi256ELi256EfEvPKfPKT2_S1_Pf15soft_max_params.numbered_sgpr, 36
	.set _ZL12soft_max_f32ILb1ELi256ELi256EfEvPKfPKT2_S1_Pf15soft_max_params.num_named_barrier, 0
	.set _ZL12soft_max_f32ILb1ELi256ELi256EfEvPKfPKT2_S1_Pf15soft_max_params.private_seg_size, 0
	.set _ZL12soft_max_f32ILb1ELi256ELi256EfEvPKfPKT2_S1_Pf15soft_max_params.uses_vcc, 1
	.set _ZL12soft_max_f32ILb1ELi256ELi256EfEvPKfPKT2_S1_Pf15soft_max_params.uses_flat_scratch, 0
	.set _ZL12soft_max_f32ILb1ELi256ELi256EfEvPKfPKT2_S1_Pf15soft_max_params.has_dyn_sized_stack, 0
	.set _ZL12soft_max_f32ILb1ELi256ELi256EfEvPKfPKT2_S1_Pf15soft_max_params.has_recursion, 0
	.set _ZL12soft_max_f32ILb1ELi256ELi256EfEvPKfPKT2_S1_Pf15soft_max_params.has_indirect_call, 0
	.section	.AMDGPU.csdata,"",@progbits
; Kernel info:
; codeLenInByte = 3584
; TotalNumSgprs: 40
; NumVgprs: 14
; ScratchSize: 0
; MemoryBound: 0
; FloatMode: 240
; IeeeMode: 1
; LDSByteSize: 0 bytes/workgroup (compile time only)
; SGPRBlocks: 4
; VGPRBlocks: 3
; NumSGPRsForWavesPerEU: 40
; NumVGPRsForWavesPerEU: 14
; Occupancy: 10
; WaveLimiterHint : 1
; COMPUTE_PGM_RSRC2:SCRATCH_EN: 0
; COMPUTE_PGM_RSRC2:USER_SGPR: 6
; COMPUTE_PGM_RSRC2:TRAP_HANDLER: 0
; COMPUTE_PGM_RSRC2:TGID_X_EN: 1
; COMPUTE_PGM_RSRC2:TGID_Y_EN: 1
; COMPUTE_PGM_RSRC2:TGID_Z_EN: 1
; COMPUTE_PGM_RSRC2:TIDIG_COMP_CNT: 0
	.section	.text._ZL12soft_max_f32ILb1ELi128ELi128EfEvPKfPKT2_S1_Pf15soft_max_params,"axG",@progbits,_ZL12soft_max_f32ILb1ELi128ELi128EfEvPKfPKT2_S1_Pf15soft_max_params,comdat
	.globl	_ZL12soft_max_f32ILb1ELi128ELi128EfEvPKfPKT2_S1_Pf15soft_max_params ; -- Begin function _ZL12soft_max_f32ILb1ELi128ELi128EfEvPKfPKT2_S1_Pf15soft_max_params
	.p2align	8
	.type	_ZL12soft_max_f32ILb1ELi128ELi128EfEvPKfPKT2_S1_Pf15soft_max_params,@function
_ZL12soft_max_f32ILb1ELi128ELi128EfEvPKfPKT2_S1_Pf15soft_max_params: ; @_ZL12soft_max_f32ILb1ELi128ELi128EfEvPKfPKT2_S1_Pf15soft_max_params
; %bb.0:
	s_load_dwordx8 s[12:19], s[4:5], 0x68
	s_load_dwordx2 s[0:1], s[4:5], 0x88
	s_mov_b32 s11, 0
	s_mov_b32 s2, s11
	;; [unrolled: 1-line block ×3, first 2 shown]
	s_waitcnt lgkmcnt(0)
	s_mov_b32 s3, s19
	s_cmp_lg_u64 s[2:3], 0
	s_cbranch_scc0 .LBB19_10
; %bb.1:
	s_ashr_i32 s2, s19, 31
	s_add_u32 s20, s18, s2
	s_mov_b32 s3, s2
	s_addc_u32 s21, s19, s2
	s_xor_b64 s[20:21], s[20:21], s[2:3]
	v_cvt_f32_u32_e32 v1, s20
	v_cvt_f32_u32_e32 v2, s21
	s_sub_u32 s7, 0, s20
	s_subb_u32 s9, 0, s21
	v_madmk_f32 v1, v2, 0x4f800000, v1
	v_rcp_f32_e32 v1, v1
	v_mul_f32_e32 v1, 0x5f7ffffc, v1
	v_mul_f32_e32 v2, 0x2f800000, v1
	v_trunc_f32_e32 v2, v2
	v_madmk_f32 v1, v2, 0xcf800000, v1
	v_cvt_u32_f32_e32 v2, v2
	v_cvt_u32_f32_e32 v1, v1
	v_readfirstlane_b32 s19, v2
	v_readfirstlane_b32 s22, v1
	s_mul_i32 s23, s7, s19
	s_mul_hi_u32 s25, s7, s22
	s_mul_i32 s24, s9, s22
	s_add_i32 s23, s25, s23
	s_add_i32 s23, s23, s24
	s_mul_i32 s26, s7, s22
	s_mul_i32 s25, s22, s23
	s_mul_hi_u32 s27, s22, s26
	s_mul_hi_u32 s24, s22, s23
	s_add_u32 s25, s27, s25
	s_addc_u32 s24, 0, s24
	s_mul_hi_u32 s28, s19, s26
	s_mul_i32 s26, s19, s26
	s_add_u32 s25, s25, s26
	s_mul_hi_u32 s27, s19, s23
	s_addc_u32 s24, s24, s28
	s_addc_u32 s25, s27, 0
	s_mul_i32 s23, s19, s23
	s_add_u32 s23, s24, s23
	s_addc_u32 s24, 0, s25
	s_add_u32 s25, s22, s23
	s_cselect_b64 s[22:23], -1, 0
	s_cmp_lg_u64 s[22:23], 0
	s_addc_u32 s19, s19, s24
	s_mul_i32 s22, s7, s19
	s_mul_hi_u32 s23, s7, s25
	s_add_i32 s22, s23, s22
	s_mul_i32 s9, s9, s25
	s_add_i32 s22, s22, s9
	s_mul_i32 s7, s7, s25
	s_mul_hi_u32 s23, s19, s7
	s_mul_i32 s24, s19, s7
	s_mul_i32 s27, s25, s22
	s_mul_hi_u32 s7, s25, s7
	s_mul_hi_u32 s26, s25, s22
	s_add_u32 s7, s7, s27
	s_addc_u32 s26, 0, s26
	s_add_u32 s7, s7, s24
	s_mul_hi_u32 s9, s19, s22
	s_addc_u32 s7, s26, s23
	s_addc_u32 s9, s9, 0
	s_mul_i32 s22, s19, s22
	s_add_u32 s7, s7, s22
	s_addc_u32 s9, 0, s9
	s_add_u32 s7, s25, s7
	s_cselect_b64 s[22:23], -1, 0
	s_cmp_lg_u64 s[22:23], 0
	s_addc_u32 s9, s19, s9
	s_add_u32 s22, s10, 0
	s_addc_u32 s23, 0, 0
	s_xor_b64 s[22:23], s[22:23], 0
	s_mul_i32 s24, s22, s9
	s_mul_hi_u32 s25, s22, s7
	s_mul_hi_u32 s19, s22, s9
	s_add_u32 s24, s25, s24
	s_addc_u32 s19, 0, s19
	s_mul_hi_u32 s26, s23, s7
	s_mul_i32 s7, s23, s7
	s_add_u32 s7, s24, s7
	s_mul_hi_u32 s25, s23, s9
	s_addc_u32 s7, s19, s26
	s_addc_u32 s19, s25, 0
	s_mul_i32 s9, s23, s9
	s_add_u32 s7, s7, s9
	s_addc_u32 s9, 0, s19
	s_mul_i32 s9, s20, s9
	s_mul_hi_u32 s19, s20, s7
	s_add_i32 s9, s19, s9
	s_mul_i32 s19, s21, s7
	s_add_i32 s9, s9, s19
	s_sub_i32 s19, s23, s9
	s_mul_i32 s7, s20, s7
	s_sub_u32 s7, s22, s7
	s_cselect_b64 s[24:25], -1, 0
	s_cmp_lg_u64 s[24:25], 0
	s_subb_u32 s19, s19, s21
	s_sub_u32 s22, s7, s20
	s_cselect_b64 s[26:27], -1, 0
	s_cmp_lg_u64 s[26:27], 0
	s_subb_u32 s28, s19, 0
	s_cmp_ge_u32 s28, s21
	s_cselect_b32 s29, -1, 0
	s_cmp_ge_u32 s22, s20
	s_cselect_b32 s30, -1, 0
	s_cmp_eq_u32 s28, s21
	s_cselect_b32 s29, s30, s29
	s_cmp_lg_u64 s[26:27], 0
	s_subb_u32 s19, s19, s21
	s_sub_u32 s30, s22, s20
	s_cselect_b64 s[26:27], -1, 0
	s_cmp_lg_u64 s[26:27], 0
	s_subb_u32 s19, s19, 0
	s_cmp_lg_u32 s29, 0
	s_cselect_b32 s22, s30, s22
	s_cselect_b32 s19, s19, s28
	s_cmp_lg_u64 s[24:25], 0
	s_subb_u32 s9, s23, s9
	s_cmp_ge_u32 s9, s21
	s_cselect_b32 s23, -1, 0
	s_cmp_ge_u32 s7, s20
	s_cselect_b32 s20, -1, 0
	s_cmp_eq_u32 s9, s21
	s_cselect_b32 s20, s20, s23
	s_cmp_lg_u32 s20, 0
	s_cselect_b32 s21, s19, s9
	s_cselect_b32 s20, s22, s7
	s_xor_b64 s[20:21], s[20:21], 0
	s_sub_u32 s28, s20, 0
	s_subb_u32 s29, s21, 0
	s_cbranch_execnz .LBB19_3
.LBB19_2:
	v_cvt_f32_u32_e32 v1, s18
	s_sub_i32 s2, 0, s18
	s_mov_b32 s29, 0
	v_rcp_iflag_f32_e32 v1, v1
	v_mul_f32_e32 v1, 0x4f7ffffe, v1
	v_cvt_u32_f32_e32 v1, v1
	v_readfirstlane_b32 s3, v1
	s_mul_i32 s2, s2, s3
	s_mul_hi_u32 s2, s3, s2
	s_add_i32 s3, s3, s2
	s_mul_hi_u32 s2, s10, s3
	s_mul_i32 s2, s2, s18
	s_sub_i32 s2, s10, s2
	s_sub_i32 s3, s2, s18
	s_cmp_ge_u32 s2, s18
	s_cselect_b32 s2, s3, s2
	s_sub_i32 s3, s2, s18
	s_cmp_ge_u32 s2, s18
	s_cselect_b32 s28, s3, s2
.LBB19_3:
	s_load_dwordx2 s[18:19], s[4:5], 0x90
	s_mov_b32 s2, 0
	s_mov_b32 s3, s1
	s_cmp_lg_u64 s[2:3], 0
	s_cbranch_scc0 .LBB19_11
; %bb.4:
	s_ashr_i32 s2, s1, 31
	s_add_u32 s20, s0, s2
	s_mov_b32 s3, s2
	s_addc_u32 s21, s1, s2
	s_xor_b64 s[20:21], s[20:21], s[2:3]
	v_cvt_f32_u32_e32 v1, s20
	v_cvt_f32_u32_e32 v2, s21
	s_sub_u32 s1, 0, s20
	s_subb_u32 s7, 0, s21
	v_madmk_f32 v1, v2, 0x4f800000, v1
	v_rcp_f32_e32 v1, v1
	v_mul_f32_e32 v1, 0x5f7ffffc, v1
	v_mul_f32_e32 v2, 0x2f800000, v1
	v_trunc_f32_e32 v2, v2
	v_madmk_f32 v1, v2, 0xcf800000, v1
	v_cvt_u32_f32_e32 v2, v2
	v_cvt_u32_f32_e32 v1, v1
	v_readfirstlane_b32 s9, v2
	v_readfirstlane_b32 s22, v1
	s_mul_i32 s23, s1, s9
	s_mul_hi_u32 s25, s1, s22
	s_mul_i32 s24, s7, s22
	s_add_i32 s23, s25, s23
	s_add_i32 s23, s23, s24
	s_mul_i32 s26, s1, s22
	s_mul_i32 s25, s22, s23
	s_mul_hi_u32 s27, s22, s26
	s_mul_hi_u32 s24, s22, s23
	s_add_u32 s25, s27, s25
	s_addc_u32 s24, 0, s24
	s_mul_hi_u32 s30, s9, s26
	s_mul_i32 s26, s9, s26
	s_add_u32 s25, s25, s26
	s_mul_hi_u32 s27, s9, s23
	s_addc_u32 s24, s24, s30
	s_addc_u32 s25, s27, 0
	s_mul_i32 s23, s9, s23
	s_add_u32 s23, s24, s23
	s_addc_u32 s24, 0, s25
	s_add_u32 s25, s22, s23
	s_cselect_b64 s[22:23], -1, 0
	s_cmp_lg_u64 s[22:23], 0
	s_addc_u32 s9, s9, s24
	s_mul_i32 s22, s1, s9
	s_mul_hi_u32 s23, s1, s25
	s_add_i32 s22, s23, s22
	s_mul_i32 s7, s7, s25
	s_add_i32 s22, s22, s7
	s_mul_i32 s1, s1, s25
	s_mul_hi_u32 s23, s9, s1
	s_mul_i32 s24, s9, s1
	s_mul_i32 s27, s25, s22
	s_mul_hi_u32 s1, s25, s1
	s_mul_hi_u32 s26, s25, s22
	s_add_u32 s1, s1, s27
	s_addc_u32 s26, 0, s26
	s_add_u32 s1, s1, s24
	s_mul_hi_u32 s7, s9, s22
	s_addc_u32 s1, s26, s23
	s_addc_u32 s7, s7, 0
	s_mul_i32 s22, s9, s22
	s_add_u32 s1, s1, s22
	s_addc_u32 s7, 0, s7
	s_add_u32 s1, s25, s1
	s_cselect_b64 s[22:23], -1, 0
	s_cmp_lg_u64 s[22:23], 0
	s_addc_u32 s7, s9, s7
	s_add_u32 s22, s8, 0
	s_addc_u32 s23, 0, 0
	s_xor_b64 s[22:23], s[22:23], 0
	s_mul_i32 s24, s22, s7
	s_mul_hi_u32 s25, s22, s1
	s_mul_hi_u32 s9, s22, s7
	s_add_u32 s24, s25, s24
	s_addc_u32 s9, 0, s9
	s_mul_hi_u32 s26, s23, s1
	s_mul_i32 s1, s23, s1
	s_add_u32 s1, s24, s1
	s_mul_hi_u32 s25, s23, s7
	s_addc_u32 s1, s9, s26
	s_addc_u32 s9, s25, 0
	s_mul_i32 s7, s23, s7
	s_add_u32 s1, s1, s7
	s_addc_u32 s7, 0, s9
	s_mul_i32 s7, s20, s7
	s_mul_hi_u32 s9, s20, s1
	s_add_i32 s7, s9, s7
	s_mul_i32 s9, s21, s1
	s_add_i32 s7, s7, s9
	s_sub_i32 s9, s23, s7
	s_mul_i32 s1, s20, s1
	s_sub_u32 s1, s22, s1
	s_cselect_b64 s[24:25], -1, 0
	s_cmp_lg_u64 s[24:25], 0
	s_subb_u32 s9, s9, s21
	s_sub_u32 s22, s1, s20
	s_cselect_b64 s[26:27], -1, 0
	s_cmp_lg_u64 s[26:27], 0
	s_subb_u32 s30, s9, 0
	s_cmp_ge_u32 s30, s21
	s_cselect_b32 s31, -1, 0
	s_cmp_ge_u32 s22, s20
	s_cselect_b32 s33, -1, 0
	s_cmp_eq_u32 s30, s21
	s_cselect_b32 s31, s33, s31
	s_cmp_lg_u64 s[26:27], 0
	s_subb_u32 s9, s9, s21
	s_sub_u32 s33, s22, s20
	s_cselect_b64 s[26:27], -1, 0
	s_cmp_lg_u64 s[26:27], 0
	s_subb_u32 s9, s9, 0
	s_cmp_lg_u32 s31, 0
	s_cselect_b32 s22, s33, s22
	s_cselect_b32 s9, s9, s30
	s_cmp_lg_u64 s[24:25], 0
	s_subb_u32 s7, s23, s7
	s_cmp_ge_u32 s7, s21
	s_cselect_b32 s23, -1, 0
	s_cmp_ge_u32 s1, s20
	s_cselect_b32 s20, -1, 0
	s_cmp_eq_u32 s7, s21
	s_cselect_b32 s20, s20, s23
	s_cmp_lg_u32 s20, 0
	s_cselect_b32 s21, s9, s7
	s_cselect_b32 s20, s22, s1
	s_xor_b64 s[20:21], s[20:21], 0
	s_sub_u32 s30, s20, 0
	s_subb_u32 s31, s21, 0
	s_cbranch_execnz .LBB19_6
.LBB19_5:
	v_cvt_f32_u32_e32 v1, s0
	s_sub_i32 s1, 0, s0
	s_mov_b32 s31, 0
	v_rcp_iflag_f32_e32 v1, v1
	v_mul_f32_e32 v1, 0x4f7ffffe, v1
	v_cvt_u32_f32_e32 v1, v1
	v_readfirstlane_b32 s2, v1
	s_mul_i32 s1, s1, s2
	s_mul_hi_u32 s1, s2, s1
	s_add_i32 s2, s2, s1
	s_mul_hi_u32 s1, s8, s2
	s_mul_i32 s1, s1, s0
	s_sub_i32 s1, s8, s1
	s_sub_i32 s2, s1, s0
	s_cmp_ge_u32 s1, s0
	s_cselect_b32 s1, s2, s1
	s_sub_i32 s2, s1, s0
	s_cmp_ge_u32 s1, s0
	s_cselect_b32 s30, s2, s1
.LBB19_6:
	s_load_dwordx2 s[34:35], s[4:5], 0xa0
	s_waitcnt lgkmcnt(0)
	v_cmp_le_f32_e64 s[0:1], s19, 0
	s_and_b64 vcc, exec, s[0:1]
	v_mov_b32_e32 v2, 1.0
	s_cbranch_vccnz .LBB19_8
; %bb.7:
	s_load_dword s2, s[4:5], 0x28
	s_load_dwordx2 s[0:1], s[4:5], 0x98
	s_add_i32 s3, s10, 1
	s_waitcnt lgkmcnt(0)
	s_sub_i32 s7, s10, s2
	v_mov_b32_e32 v2, s0
	s_lshl_b32 s0, s7, 1
	s_or_b32 s7, s0, 1
	s_cmp_lt_u32 s10, s2
	s_cselect_b64 vcc, -1, 0
	v_mov_b32_e32 v1, s1
	s_and_b64 s[0:1], vcc, exec
	s_cselect_b32 s0, s3, s7
	v_cndmask_b32_e32 v1, v1, v2, vcc
	v_cvt_f32_i32_e32 v2, s0
	v_cmp_neq_f32_e32 vcc, 1.0, v1
	s_mov_b32 s0, 0x3f2aaaab
	s_movk_i32 s2, 0x204
	v_cndmask_b32_e32 v2, 1.0, v2, vcc
	v_cmp_neq_f32_e32 vcc, 0, v2
	v_cndmask_b32_e32 v1, 1.0, v1, vcc
	v_frexp_mant_f32_e64 v3, |v1|
	v_cmp_gt_f32_e32 vcc, s0, v3
	v_cndmask_b32_e64 v4, 1.0, 2.0, vcc
	v_mul_f32_e32 v3, v3, v4
	v_add_f32_e32 v4, 1.0, v3
	v_rcp_f32_e32 v5, v4
	v_add_f32_e32 v6, -1.0, v3
	v_add_f32_e32 v7, -1.0, v4
	v_sub_f32_e32 v3, v3, v7
	v_mul_f32_e32 v7, v6, v5
	v_mul_f32_e32 v8, v4, v7
	v_fma_f32 v4, v7, v4, -v8
	v_fmac_f32_e32 v4, v7, v3
	v_add_f32_e32 v3, v8, v4
	v_sub_f32_e32 v9, v6, v3
	v_sub_f32_e32 v8, v3, v8
	v_sub_f32_e32 v6, v6, v9
	v_sub_f32_e32 v3, v6, v3
	v_sub_f32_e32 v4, v8, v4
	v_add_f32_e32 v3, v4, v3
	v_add_f32_e32 v3, v9, v3
	v_mul_f32_e32 v3, v5, v3
	v_add_f32_e32 v5, v7, v3
	v_sub_f32_e32 v4, v5, v7
	v_sub_f32_e32 v6, v3, v4
	v_mul_f32_e32 v3, v5, v5
	v_fma_f32 v4, v5, v5, -v3
	v_add_f32_e32 v7, v6, v6
	v_fmac_f32_e32 v4, v5, v7
	v_add_f32_e32 v7, v3, v4
	v_mov_b32_e32 v8, 0x3e91f4c4
	v_sub_f32_e32 v3, v7, v3
	v_fmac_f32_e32 v8, 0x3e76c4e1, v7
	v_mov_b32_e32 v9, 0x3ecccdef
	v_sub_f32_e32 v3, v4, v3
	v_mul_f32_e32 v4, v5, v7
	v_fmac_f32_e32 v9, v7, v8
	v_fma_f32 v8, v7, v5, -v4
	v_fmac_f32_e32 v8, v7, v6
	v_fmac_f32_e32 v8, v3, v5
	v_add_f32_e32 v10, v4, v8
	v_sub_f32_e32 v4, v10, v4
	v_sub_f32_e32 v8, v8, v4
	v_mul_f32_e32 v4, v7, v9
	v_fma_f32 v7, v7, v9, -v4
	v_fmac_f32_e32 v7, v3, v9
	v_add_f32_e32 v9, v4, v7
	v_sub_f32_e32 v3, v9, v4
	v_sub_f32_e32 v7, v7, v3
	v_cvt_f64_f32_e64 v[3:4], |v1|
	v_add_f32_e32 v11, 0x3f2aaaaa, v9
	v_add_f32_e32 v12, 0xbf2aaaaa, v11
	;; [unrolled: 1-line block ×3, first 2 shown]
	v_frexp_exp_i32_f64_e32 v3, v[3:4]
	v_sub_f32_e32 v9, v9, v12
	v_add_f32_e32 v4, v7, v9
	v_add_f32_e32 v7, v11, v4
	v_sub_f32_e32 v9, v11, v7
	v_add_f32_e32 v4, v4, v9
	v_mul_f32_e32 v9, v10, v7
	v_fma_f32 v11, v10, v7, -v9
	v_subbrev_co_u32_e32 v3, vcc, 0, v3, vcc
	v_cvt_f32_i32_e32 v3, v3
	v_fmac_f32_e32 v11, v10, v4
	s_mov_b32 s0, 0x3f317218
	v_fmac_f32_e32 v11, v8, v7
	v_mul_f32_e32 v4, 0x3f317218, v3
	v_fma_f32 v7, v3, s0, -v4
	v_fmac_f32_e32 v7, 0xb102e308, v3
	v_ldexp_f32 v3, v6, 1
	v_add_f32_e32 v6, v4, v7
	v_sub_f32_e32 v4, v6, v4
	v_ldexp_f32 v5, v5, 1
	v_sub_f32_e32 v4, v7, v4
	v_add_f32_e32 v7, v9, v11
	v_sub_f32_e32 v8, v7, v9
	v_add_f32_e32 v9, v5, v7
	v_sub_f32_e32 v8, v11, v8
	v_sub_f32_e32 v5, v9, v5
	;; [unrolled: 1-line block ×3, first 2 shown]
	v_add_f32_e32 v3, v3, v8
	v_add_f32_e32 v3, v3, v5
	;; [unrolled: 1-line block ×3, first 2 shown]
	v_sub_f32_e32 v7, v5, v9
	v_sub_f32_e32 v3, v3, v7
	v_add_f32_e32 v7, v6, v5
	v_sub_f32_e32 v8, v7, v6
	v_sub_f32_e32 v9, v7, v8
	;; [unrolled: 1-line block ×4, first 2 shown]
	v_add_f32_e32 v5, v5, v6
	v_add_f32_e32 v6, v4, v3
	v_sub_f32_e32 v8, v6, v4
	v_sub_f32_e32 v9, v6, v8
	;; [unrolled: 1-line block ×4, first 2 shown]
	v_add_f32_e32 v3, v3, v4
	v_add_f32_e32 v4, v6, v5
	;; [unrolled: 1-line block ×3, first 2 shown]
	v_sub_f32_e32 v6, v5, v7
	v_sub_f32_e32 v4, v4, v6
	v_add_f32_e32 v3, v3, v4
	v_add_f32_e32 v4, v5, v3
	v_sub_f32_e32 v5, v4, v5
	v_sub_f32_e32 v3, v3, v5
	v_mul_f32_e32 v5, v2, v4
	v_fma_f32 v4, v2, v4, -v5
	v_fmac_f32_e32 v4, v2, v3
	v_add_f32_e32 v3, v5, v4
	v_cmp_class_f32_e64 vcc, v5, s2
	v_sub_f32_e32 v6, v3, v5
	v_cndmask_b32_e32 v3, v3, v5, vcc
	s_mov_b32 s1, 0x42b17218
	v_mov_b32_e32 v5, 0x37000000
	v_cmp_eq_f32_e32 vcc, s1, v3
	v_cndmask_b32_e32 v5, 0, v5, vcc
	v_sub_f32_e32 v4, v4, v6
	v_sub_f32_e32 v6, v3, v5
	s_mov_b32 s3, 0x3fb8aa3b
	v_mul_f32_e32 v7, 0x3fb8aa3b, v6
	v_fma_f32 v8, v6, s3, -v7
	v_rndne_f32_e32 v9, v7
	v_fmac_f32_e32 v8, 0x32a5705f, v6
	v_sub_f32_e32 v7, v7, v9
	v_add_f32_e32 v7, v7, v8
	v_exp_f32_e32 v7, v7
	v_cvt_i32_f32_e32 v8, v9
	s_mov_b32 s0, 0x7f800000
	v_cmp_neq_f32_e64 vcc, |v3|, s0
	s_mov_b32 s0, 0xc2ce8ed0
	v_cndmask_b32_e32 v3, 0, v4, vcc
	v_ldexp_f32 v4, v7, v8
	v_cmp_ngt_f32_e32 vcc, s0, v6
	v_add_f32_e32 v3, v5, v3
	v_cndmask_b32_e32 v4, 0, v4, vcc
	v_mov_b32_e32 v5, 0x7f800000
	v_cmp_nlt_f32_e32 vcc, s1, v6
	v_cndmask_b32_e32 v4, v5, v4, vcc
	v_fma_f32 v3, v4, v3, v4
	v_cmp_class_f32_e64 vcc, v4, s2
	v_cndmask_b32_e32 v3, v3, v4, vcc
	v_trunc_f32_e32 v4, v2
	v_cmp_eq_f32_e32 vcc, v4, v2
	v_mul_f32_e32 v4, 0.5, v2
	v_trunc_f32_e32 v7, v4
	v_cmp_neq_f32_e64 s[0:1], v7, v4
	s_and_b64 s[0:1], vcc, s[0:1]
	v_cndmask_b32_e64 v4, 1.0, v1, s[0:1]
	s_brev_b32 s7, -2
	v_mov_b32_e32 v6, 0x7fc00000
	v_bfi_b32 v3, s7, v3, v4
	v_cndmask_b32_e32 v4, v6, v3, vcc
	v_cmp_gt_f32_e32 vcc, 0, v1
	v_cndmask_b32_e32 v3, v3, v4, vcc
	v_cmp_class_f32_e64 s[20:21], v1, s2
	v_cmp_eq_f32_e32 vcc, 0, v1
	v_cmp_gt_f32_e64 s[2:3], 0, v2
	s_xor_b64 s[2:3], s[2:3], vcc
	v_cndmask_b32_e64 v2, v5, 0, s[2:3]
	v_cndmask_b32_e64 v4, 0, v1, s[0:1]
	v_bfi_b32 v2, s7, v2, v4
	s_or_b64 vcc, vcc, s[20:21]
	v_cndmask_b32_e32 v2, v3, v2, vcc
	v_cmp_o_f32_e32 vcc, v1, v1
	v_cndmask_b32_e32 v2, v6, v2, vcc
.LBB19_8:
	s_load_dwordx8 s[20:27], s[4:5], 0x0
	s_waitcnt lgkmcnt(0)
	s_cmp_lg_u64 s[24:25], 0
	s_cselect_b64 s[4:5], -1, 0
	s_cmp_eq_u64 s[24:25], 0
	s_cbranch_scc1 .LBB19_12
; %bb.9:
	s_lshl_b64 s[0:1], s[10:11], 2
	s_add_u32 s0, s24, s0
	s_addc_u32 s1, s25, s1
	s_load_dword s2, s[0:1], 0x0
	s_branch .LBB19_13
.LBB19_10:
                                        ; implicit-def: $sgpr28_sgpr29
	s_branch .LBB19_2
.LBB19_11:
                                        ; implicit-def: $sgpr30_sgpr31
	s_branch .LBB19_5
.LBB19_12:
	s_mov_b32 s2, 0xff800000
.LBB19_13:
	s_mul_i32 s0, s35, s8
	s_add_i32 s0, s0, s10
	s_mul_i32 s0, s0, s34
	s_add_i32 s8, s0, s6
	s_ashr_i32 s9, s8, 31
	s_lshl_b64 s[0:1], s[8:9], 9
	s_add_u32 s0, s20, s0
	s_addc_u32 s1, s21, s1
	v_lshlrev_b32_e32 v1, 2, v0
	global_load_dword v3, v1, s[0:1]
	s_cmp_eq_u64 s[22:23], 0
	s_cselect_b64 s[0:1], -1, 0
	s_cmp_lg_u64 s[22:23], 0
	v_mov_b32_e32 v8, 0
	s_cbranch_scc0 .LBB19_15
; %bb.14:
	s_mul_i32 s3, s13, s6
	s_mul_hi_u32 s7, s12, s6
	s_add_i32 s7, s7, s3
	s_mul_i32 s3, s12, s6
	s_mul_i32 s6, s28, s15
	s_mul_hi_u32 s12, s28, s14
	s_add_i32 s6, s12, s6
	s_mul_i32 s12, s29, s14
	s_add_i32 s6, s6, s12
	s_mul_i32 s12, s28, s14
	s_add_u32 s3, s12, s3
	s_addc_u32 s7, s6, s7
	s_mul_i32 s6, s30, s17
	s_mul_hi_u32 s12, s30, s16
	s_add_i32 s6, s12, s6
	s_mul_i32 s12, s31, s16
	s_add_i32 s12, s6, s12
	s_mul_i32 s6, s30, s16
	s_add_u32 s6, s3, s6
	s_addc_u32 s7, s7, s12
	s_lshr_b64 s[6:7], s[6:7], 2
	s_and_b64 s[0:1], s[0:1], exec
	s_cselect_b32 s1, 0, s7
	s_cselect_b32 s0, 0, s6
	s_lshl_b64 s[0:1], s[0:1], 2
	s_add_u32 s0, s22, s0
	s_addc_u32 s1, s23, s1
	global_load_dword v4, v1, s[0:1]
	s_waitcnt vmcnt(0)
	v_mul_f32_e32 v8, v2, v4
.LBB19_15:
	s_waitcnt vmcnt(0)
	v_fmac_f32_e32 v8, s18, v3
	v_mbcnt_lo_u32_b32 v3, -1, 0
	v_mbcnt_hi_u32_b32 v7, -1, v3
	v_and_b32_e32 v3, 0x60, v7
	v_add_u32_e32 v10, 32, v3
	v_xor_b32_e32 v3, 16, v7
	v_cmp_lt_i32_e32 vcc, v3, v10
	s_waitcnt lgkmcnt(0)
	v_max_f32_e64 v2, s2, s2
	v_cndmask_b32_e32 v3, v7, v3, vcc
	v_max_f32_e32 v2, v2, v8
	v_lshlrev_b32_e32 v3, 2, v3
	ds_bpermute_b32 v4, v3, v2
	s_waitcnt lgkmcnt(0)
	v_max_f32_e32 v4, v4, v4
	v_max_f32_e32 v2, v2, v4
	v_xor_b32_e32 v4, 8, v7
	v_cmp_lt_i32_e32 vcc, v4, v10
	v_cndmask_b32_e32 v4, v7, v4, vcc
	v_lshlrev_b32_e32 v4, 2, v4
	ds_bpermute_b32 v5, v4, v2
	s_waitcnt lgkmcnt(0)
	v_max_f32_e32 v5, v5, v5
	v_max_f32_e32 v2, v2, v5
	v_xor_b32_e32 v5, 4, v7
	v_cmp_lt_i32_e32 vcc, v5, v10
	v_cndmask_b32_e32 v5, v7, v5, vcc
	;; [unrolled: 8-line block ×3, first 2 shown]
	v_lshlrev_b32_e32 v6, 2, v2
	ds_bpermute_b32 v11, v6, v9
	v_lshl_add_u32 v2, v0, 2, 0
	ds_write_b32 v2, v8 offset:128
	v_and_b32_e32 v8, 31, v0
	v_lshrrev_b32_e32 v0, 3, v0
	s_waitcnt lgkmcnt(1)
	v_max_f32_e32 v11, v11, v11
	v_max_f32_e32 v9, v9, v11
	v_xor_b32_e32 v11, 1, v7
	v_cmp_lt_i32_e32 vcc, v11, v10
	v_cndmask_b32_e32 v7, v7, v11, vcc
	v_lshlrev_b32_e32 v7, 2, v7
	ds_bpermute_b32 v10, v7, v9
	v_cmp_eq_u32_e32 vcc, 0, v8
	s_and_saveexec_b64 s[0:1], vcc
	s_xor_b64 s[0:1], exec, s[0:1]
	s_cbranch_execz .LBB19_17
; %bb.16:
	s_waitcnt lgkmcnt(0)
	v_max_f32_e32 v10, v10, v10
	v_max_f32_e32 v9, v9, v9
	;; [unrolled: 1-line block ×3, first 2 shown]
	v_add_u32_e32 v10, 0, v0
	ds_write_b32 v10, v9
.LBB19_17:
	s_or_b64 exec, exec, s[0:1]
	v_cmp_gt_u32_e64 s[0:1], 4, v8
	v_mov_b32_e32 v9, 0xff800000
	v_lshl_add_u32 v8, v8, 2, 0
	s_waitcnt lgkmcnt(0)
	s_barrier
	s_and_saveexec_b64 s[2:3], s[0:1]
; %bb.18:
	ds_read_b32 v9, v8
; %bb.19:
	s_or_b64 exec, exec, s[2:3]
	s_waitcnt lgkmcnt(0)
	ds_bpermute_b32 v10, v3, v9
	v_max_f32_e32 v9, v9, v9
	ds_read_b32 v11, v2 offset:128
	s_mov_b32 s2, 0x3fb8aa3b
	s_mov_b32 s6, 0x42b17218
	s_waitcnt lgkmcnt(1)
	v_max_f32_e32 v10, v10, v10
	v_max_f32_e32 v9, v9, v10
	ds_bpermute_b32 v10, v4, v9
	s_waitcnt lgkmcnt(0)
	v_max_f32_e32 v10, v10, v10
	v_max_f32_e32 v9, v9, v10
	ds_bpermute_b32 v10, v5, v9
	;; [unrolled: 4-line block ×4, first 2 shown]
	s_waitcnt lgkmcnt(0)
	v_max_f32_e32 v10, v10, v10
	v_max_f32_e32 v9, v9, v10
	v_sub_f32_e32 v10, v11, v9
	v_mul_f32_e32 v11, 0x3fb8aa3b, v10
	v_fma_f32 v12, v10, s2, -v11
	v_rndne_f32_e32 v13, v11
	v_fmac_f32_e32 v12, 0x32a5705f, v10
	v_sub_f32_e32 v11, v11, v13
	v_add_f32_e32 v11, v11, v12
	v_cvt_i32_f32_e32 v13, v13
	v_exp_f32_e32 v11, v11
	s_mov_b32 s2, 0xc2ce8ed0
	v_cmp_ngt_f32_e64 s[2:3], s2, v10
	v_mov_b32_e32 v12, 0x7f800000
	v_ldexp_f32 v11, v11, v13
	v_cndmask_b32_e64 v11, 0, v11, s[2:3]
	v_cmp_nlt_f32_e64 s[2:3], s6, v10
	v_cndmask_b32_e64 v12, v12, v11, s[2:3]
	ds_bpermute_b32 v10, v3, v12
	ds_write_b32 v2, v12 offset:128
	s_waitcnt lgkmcnt(1)
	v_add_f32_e32 v10, v12, v10
	ds_bpermute_b32 v11, v4, v10
	s_waitcnt lgkmcnt(0)
	v_add_f32_e32 v10, v10, v11
	ds_bpermute_b32 v11, v5, v10
	;; [unrolled: 3-line block ×4, first 2 shown]
	s_and_saveexec_b64 s[2:3], vcc
	s_cbranch_execz .LBB19_21
; %bb.20:
	s_waitcnt lgkmcnt(0)
	v_add_f32_e32 v10, v10, v11
	v_add_u32_e32 v0, 0, v0
	ds_write_b32 v0, v10
.LBB19_21:
	s_or_b64 exec, exec, s[2:3]
	v_mov_b32_e32 v0, 0
	s_waitcnt lgkmcnt(0)
	s_barrier
	s_and_saveexec_b64 s[2:3], s[0:1]
; %bb.22:
	ds_read_b32 v0, v8
; %bb.23:
	s_or_b64 exec, exec, s[2:3]
	s_waitcnt lgkmcnt(0)
	ds_bpermute_b32 v3, v3, v0
	s_lshl_b64 s[0:1], s[8:9], 7
	s_andn2_b64 vcc, exec, s[4:5]
	s_waitcnt lgkmcnt(0)
	v_add_f32_e32 v0, v0, v3
	ds_bpermute_b32 v3, v4, v0
	s_waitcnt lgkmcnt(0)
	v_add_f32_e32 v0, v0, v3
	ds_bpermute_b32 v3, v5, v0
	;; [unrolled: 3-line block ×4, first 2 shown]
	s_waitcnt lgkmcnt(0)
	v_add_f32_e32 v0, v0, v3
	s_cbranch_vccnz .LBB19_25
; %bb.24:
	s_lshl_b64 s[2:3], s[10:11], 2
	s_add_u32 s2, s24, s2
	s_addc_u32 s3, s25, s3
	s_load_dword s2, s[2:3], 0x0
	s_mov_b32 s3, 0x3fb8aa3b
	s_waitcnt lgkmcnt(0)
	v_sub_f32_e32 v3, s2, v9
	v_mul_f32_e32 v4, 0x3fb8aa3b, v3
	v_fma_f32 v5, v3, s3, -v4
	v_rndne_f32_e32 v6, v4
	v_fmac_f32_e32 v5, 0x32a5705f, v3
	v_sub_f32_e32 v4, v4, v6
	v_add_f32_e32 v4, v4, v5
	v_cvt_i32_f32_e32 v6, v6
	v_exp_f32_e32 v4, v4
	s_mov_b32 s2, 0xc2ce8ed0
	s_mov_b32 s3, 0x42b17218
	v_cmp_ngt_f32_e32 vcc, s2, v3
	v_ldexp_f32 v4, v4, v6
	v_cndmask_b32_e32 v4, 0, v4, vcc
	v_mov_b32_e32 v5, 0x7f800000
	v_cmp_nlt_f32_e32 vcc, s3, v3
	v_cndmask_b32_e32 v3, v5, v4, vcc
	v_add_f32_e32 v0, v0, v3
.LBB19_25:
	v_div_scale_f32 v3, s[2:3], v0, v0, 1.0
	v_div_scale_f32 v4, vcc, 1.0, v0, 1.0
	ds_read_b32 v2, v2 offset:128
	s_lshl_b64 s[0:1], s[0:1], 2
	s_add_u32 s0, s26, s0
	s_addc_u32 s1, s27, s1
	v_rcp_f32_e32 v5, v3
	v_fma_f32 v6, -v3, v5, 1.0
	v_fmac_f32_e32 v5, v6, v5
	v_mul_f32_e32 v6, v4, v5
	v_fma_f32 v7, -v3, v6, v4
	v_fmac_f32_e32 v6, v7, v5
	v_fma_f32 v3, -v3, v6, v4
	v_div_fmas_f32 v3, v3, v5, v6
	v_div_fixup_f32 v0, v3, v0, 1.0
	s_waitcnt lgkmcnt(0)
	v_mul_f32_e32 v0, v0, v2
	global_store_dword v1, v0, s[0:1]
	s_endpgm
	.section	.rodata,"a",@progbits
	.p2align	6, 0x0
	.amdhsa_kernel _ZL12soft_max_f32ILb1ELi128ELi128EfEvPKfPKT2_S1_Pf15soft_max_params
		.amdhsa_group_segment_fixed_size 0
		.amdhsa_private_segment_fixed_size 0
		.amdhsa_kernarg_size 416
		.amdhsa_user_sgpr_count 6
		.amdhsa_user_sgpr_private_segment_buffer 1
		.amdhsa_user_sgpr_dispatch_ptr 0
		.amdhsa_user_sgpr_queue_ptr 0
		.amdhsa_user_sgpr_kernarg_segment_ptr 1
		.amdhsa_user_sgpr_dispatch_id 0
		.amdhsa_user_sgpr_flat_scratch_init 0
		.amdhsa_user_sgpr_private_segment_size 0
		.amdhsa_uses_dynamic_stack 0
		.amdhsa_system_sgpr_private_segment_wavefront_offset 0
		.amdhsa_system_sgpr_workgroup_id_x 1
		.amdhsa_system_sgpr_workgroup_id_y 1
		.amdhsa_system_sgpr_workgroup_id_z 1
		.amdhsa_system_sgpr_workgroup_info 0
		.amdhsa_system_vgpr_workitem_id 0
		.amdhsa_next_free_vgpr 14
		.amdhsa_next_free_sgpr 36
		.amdhsa_reserve_vcc 1
		.amdhsa_reserve_flat_scratch 0
		.amdhsa_float_round_mode_32 0
		.amdhsa_float_round_mode_16_64 0
		.amdhsa_float_denorm_mode_32 3
		.amdhsa_float_denorm_mode_16_64 3
		.amdhsa_dx10_clamp 1
		.amdhsa_ieee_mode 1
		.amdhsa_fp16_overflow 0
		.amdhsa_exception_fp_ieee_invalid_op 0
		.amdhsa_exception_fp_denorm_src 0
		.amdhsa_exception_fp_ieee_div_zero 0
		.amdhsa_exception_fp_ieee_overflow 0
		.amdhsa_exception_fp_ieee_underflow 0
		.amdhsa_exception_fp_ieee_inexact 0
		.amdhsa_exception_int_div_zero 0
	.end_amdhsa_kernel
	.section	.text._ZL12soft_max_f32ILb1ELi128ELi128EfEvPKfPKT2_S1_Pf15soft_max_params,"axG",@progbits,_ZL12soft_max_f32ILb1ELi128ELi128EfEvPKfPKT2_S1_Pf15soft_max_params,comdat
.Lfunc_end19:
	.size	_ZL12soft_max_f32ILb1ELi128ELi128EfEvPKfPKT2_S1_Pf15soft_max_params, .Lfunc_end19-_ZL12soft_max_f32ILb1ELi128ELi128EfEvPKfPKT2_S1_Pf15soft_max_params
                                        ; -- End function
	.set _ZL12soft_max_f32ILb1ELi128ELi128EfEvPKfPKT2_S1_Pf15soft_max_params.num_vgpr, 14
	.set _ZL12soft_max_f32ILb1ELi128ELi128EfEvPKfPKT2_S1_Pf15soft_max_params.num_agpr, 0
	.set _ZL12soft_max_f32ILb1ELi128ELi128EfEvPKfPKT2_S1_Pf15soft_max_params.numbered_sgpr, 36
	.set _ZL12soft_max_f32ILb1ELi128ELi128EfEvPKfPKT2_S1_Pf15soft_max_params.num_named_barrier, 0
	.set _ZL12soft_max_f32ILb1ELi128ELi128EfEvPKfPKT2_S1_Pf15soft_max_params.private_seg_size, 0
	.set _ZL12soft_max_f32ILb1ELi128ELi128EfEvPKfPKT2_S1_Pf15soft_max_params.uses_vcc, 1
	.set _ZL12soft_max_f32ILb1ELi128ELi128EfEvPKfPKT2_S1_Pf15soft_max_params.uses_flat_scratch, 0
	.set _ZL12soft_max_f32ILb1ELi128ELi128EfEvPKfPKT2_S1_Pf15soft_max_params.has_dyn_sized_stack, 0
	.set _ZL12soft_max_f32ILb1ELi128ELi128EfEvPKfPKT2_S1_Pf15soft_max_params.has_recursion, 0
	.set _ZL12soft_max_f32ILb1ELi128ELi128EfEvPKfPKT2_S1_Pf15soft_max_params.has_indirect_call, 0
	.section	.AMDGPU.csdata,"",@progbits
; Kernel info:
; codeLenInByte = 3584
; TotalNumSgprs: 40
; NumVgprs: 14
; ScratchSize: 0
; MemoryBound: 0
; FloatMode: 240
; IeeeMode: 1
; LDSByteSize: 0 bytes/workgroup (compile time only)
; SGPRBlocks: 4
; VGPRBlocks: 3
; NumSGPRsForWavesPerEU: 40
; NumVGPRsForWavesPerEU: 14
; Occupancy: 10
; WaveLimiterHint : 1
; COMPUTE_PGM_RSRC2:SCRATCH_EN: 0
; COMPUTE_PGM_RSRC2:USER_SGPR: 6
; COMPUTE_PGM_RSRC2:TRAP_HANDLER: 0
; COMPUTE_PGM_RSRC2:TGID_X_EN: 1
; COMPUTE_PGM_RSRC2:TGID_Y_EN: 1
; COMPUTE_PGM_RSRC2:TGID_Z_EN: 1
; COMPUTE_PGM_RSRC2:TIDIG_COMP_CNT: 0
	.section	.text._ZL12soft_max_f32ILb1ELi64ELi64EfEvPKfPKT2_S1_Pf15soft_max_params,"axG",@progbits,_ZL12soft_max_f32ILb1ELi64ELi64EfEvPKfPKT2_S1_Pf15soft_max_params,comdat
	.globl	_ZL12soft_max_f32ILb1ELi64ELi64EfEvPKfPKT2_S1_Pf15soft_max_params ; -- Begin function _ZL12soft_max_f32ILb1ELi64ELi64EfEvPKfPKT2_S1_Pf15soft_max_params
	.p2align	8
	.type	_ZL12soft_max_f32ILb1ELi64ELi64EfEvPKfPKT2_S1_Pf15soft_max_params,@function
_ZL12soft_max_f32ILb1ELi64ELi64EfEvPKfPKT2_S1_Pf15soft_max_params: ; @_ZL12soft_max_f32ILb1ELi64ELi64EfEvPKfPKT2_S1_Pf15soft_max_params
; %bb.0:
	s_load_dwordx8 s[12:19], s[4:5], 0x68
	s_load_dwordx2 s[0:1], s[4:5], 0x88
	s_mov_b32 s11, 0
	s_mov_b32 s2, s11
	;; [unrolled: 1-line block ×3, first 2 shown]
	s_waitcnt lgkmcnt(0)
	s_mov_b32 s3, s19
	s_cmp_lg_u64 s[2:3], 0
	s_cbranch_scc0 .LBB20_10
; %bb.1:
	s_ashr_i32 s2, s19, 31
	s_add_u32 s20, s18, s2
	s_mov_b32 s3, s2
	s_addc_u32 s21, s19, s2
	s_xor_b64 s[20:21], s[20:21], s[2:3]
	v_cvt_f32_u32_e32 v1, s20
	v_cvt_f32_u32_e32 v2, s21
	s_sub_u32 s7, 0, s20
	s_subb_u32 s9, 0, s21
	v_madmk_f32 v1, v2, 0x4f800000, v1
	v_rcp_f32_e32 v1, v1
	v_mul_f32_e32 v1, 0x5f7ffffc, v1
	v_mul_f32_e32 v2, 0x2f800000, v1
	v_trunc_f32_e32 v2, v2
	v_madmk_f32 v1, v2, 0xcf800000, v1
	v_cvt_u32_f32_e32 v2, v2
	v_cvt_u32_f32_e32 v1, v1
	v_readfirstlane_b32 s19, v2
	v_readfirstlane_b32 s22, v1
	s_mul_i32 s23, s7, s19
	s_mul_hi_u32 s25, s7, s22
	s_mul_i32 s24, s9, s22
	s_add_i32 s23, s25, s23
	s_add_i32 s23, s23, s24
	s_mul_i32 s26, s7, s22
	s_mul_i32 s25, s22, s23
	s_mul_hi_u32 s27, s22, s26
	s_mul_hi_u32 s24, s22, s23
	s_add_u32 s25, s27, s25
	s_addc_u32 s24, 0, s24
	s_mul_hi_u32 s28, s19, s26
	s_mul_i32 s26, s19, s26
	s_add_u32 s25, s25, s26
	s_mul_hi_u32 s27, s19, s23
	s_addc_u32 s24, s24, s28
	s_addc_u32 s25, s27, 0
	s_mul_i32 s23, s19, s23
	s_add_u32 s23, s24, s23
	s_addc_u32 s24, 0, s25
	s_add_u32 s25, s22, s23
	s_cselect_b64 s[22:23], -1, 0
	s_cmp_lg_u64 s[22:23], 0
	s_addc_u32 s19, s19, s24
	s_mul_i32 s22, s7, s19
	s_mul_hi_u32 s23, s7, s25
	s_add_i32 s22, s23, s22
	s_mul_i32 s9, s9, s25
	s_add_i32 s22, s22, s9
	s_mul_i32 s7, s7, s25
	s_mul_hi_u32 s23, s19, s7
	s_mul_i32 s24, s19, s7
	s_mul_i32 s27, s25, s22
	s_mul_hi_u32 s7, s25, s7
	s_mul_hi_u32 s26, s25, s22
	s_add_u32 s7, s7, s27
	s_addc_u32 s26, 0, s26
	s_add_u32 s7, s7, s24
	s_mul_hi_u32 s9, s19, s22
	s_addc_u32 s7, s26, s23
	s_addc_u32 s9, s9, 0
	s_mul_i32 s22, s19, s22
	s_add_u32 s7, s7, s22
	s_addc_u32 s9, 0, s9
	s_add_u32 s7, s25, s7
	s_cselect_b64 s[22:23], -1, 0
	s_cmp_lg_u64 s[22:23], 0
	s_addc_u32 s9, s19, s9
	s_add_u32 s22, s10, 0
	s_addc_u32 s23, 0, 0
	s_xor_b64 s[22:23], s[22:23], 0
	s_mul_i32 s24, s22, s9
	s_mul_hi_u32 s25, s22, s7
	s_mul_hi_u32 s19, s22, s9
	s_add_u32 s24, s25, s24
	s_addc_u32 s19, 0, s19
	s_mul_hi_u32 s26, s23, s7
	s_mul_i32 s7, s23, s7
	s_add_u32 s7, s24, s7
	s_mul_hi_u32 s25, s23, s9
	s_addc_u32 s7, s19, s26
	s_addc_u32 s19, s25, 0
	s_mul_i32 s9, s23, s9
	s_add_u32 s7, s7, s9
	s_addc_u32 s9, 0, s19
	s_mul_i32 s9, s20, s9
	s_mul_hi_u32 s19, s20, s7
	s_add_i32 s9, s19, s9
	s_mul_i32 s19, s21, s7
	s_add_i32 s9, s9, s19
	s_sub_i32 s19, s23, s9
	s_mul_i32 s7, s20, s7
	s_sub_u32 s7, s22, s7
	s_cselect_b64 s[24:25], -1, 0
	s_cmp_lg_u64 s[24:25], 0
	s_subb_u32 s19, s19, s21
	s_sub_u32 s22, s7, s20
	s_cselect_b64 s[26:27], -1, 0
	s_cmp_lg_u64 s[26:27], 0
	s_subb_u32 s28, s19, 0
	s_cmp_ge_u32 s28, s21
	s_cselect_b32 s29, -1, 0
	s_cmp_ge_u32 s22, s20
	s_cselect_b32 s30, -1, 0
	s_cmp_eq_u32 s28, s21
	s_cselect_b32 s29, s30, s29
	s_cmp_lg_u64 s[26:27], 0
	s_subb_u32 s19, s19, s21
	s_sub_u32 s30, s22, s20
	s_cselect_b64 s[26:27], -1, 0
	s_cmp_lg_u64 s[26:27], 0
	s_subb_u32 s19, s19, 0
	s_cmp_lg_u32 s29, 0
	s_cselect_b32 s22, s30, s22
	s_cselect_b32 s19, s19, s28
	s_cmp_lg_u64 s[24:25], 0
	s_subb_u32 s9, s23, s9
	s_cmp_ge_u32 s9, s21
	s_cselect_b32 s23, -1, 0
	s_cmp_ge_u32 s7, s20
	s_cselect_b32 s20, -1, 0
	s_cmp_eq_u32 s9, s21
	s_cselect_b32 s20, s20, s23
	s_cmp_lg_u32 s20, 0
	s_cselect_b32 s21, s19, s9
	s_cselect_b32 s20, s22, s7
	s_xor_b64 s[20:21], s[20:21], 0
	s_sub_u32 s28, s20, 0
	s_subb_u32 s29, s21, 0
	s_cbranch_execnz .LBB20_3
.LBB20_2:
	v_cvt_f32_u32_e32 v1, s18
	s_sub_i32 s2, 0, s18
	s_mov_b32 s29, 0
	v_rcp_iflag_f32_e32 v1, v1
	v_mul_f32_e32 v1, 0x4f7ffffe, v1
	v_cvt_u32_f32_e32 v1, v1
	v_readfirstlane_b32 s3, v1
	s_mul_i32 s2, s2, s3
	s_mul_hi_u32 s2, s3, s2
	s_add_i32 s3, s3, s2
	s_mul_hi_u32 s2, s10, s3
	s_mul_i32 s2, s2, s18
	s_sub_i32 s2, s10, s2
	s_sub_i32 s3, s2, s18
	s_cmp_ge_u32 s2, s18
	s_cselect_b32 s2, s3, s2
	s_sub_i32 s3, s2, s18
	s_cmp_ge_u32 s2, s18
	s_cselect_b32 s28, s3, s2
.LBB20_3:
	s_load_dwordx2 s[18:19], s[4:5], 0x90
	s_mov_b32 s2, 0
	s_mov_b32 s3, s1
	s_cmp_lg_u64 s[2:3], 0
	s_cbranch_scc0 .LBB20_11
; %bb.4:
	s_ashr_i32 s2, s1, 31
	s_add_u32 s20, s0, s2
	s_mov_b32 s3, s2
	s_addc_u32 s21, s1, s2
	s_xor_b64 s[20:21], s[20:21], s[2:3]
	v_cvt_f32_u32_e32 v1, s20
	v_cvt_f32_u32_e32 v2, s21
	s_sub_u32 s1, 0, s20
	s_subb_u32 s7, 0, s21
	v_madmk_f32 v1, v2, 0x4f800000, v1
	v_rcp_f32_e32 v1, v1
	v_mul_f32_e32 v1, 0x5f7ffffc, v1
	v_mul_f32_e32 v2, 0x2f800000, v1
	v_trunc_f32_e32 v2, v2
	v_madmk_f32 v1, v2, 0xcf800000, v1
	v_cvt_u32_f32_e32 v2, v2
	v_cvt_u32_f32_e32 v1, v1
	v_readfirstlane_b32 s9, v2
	v_readfirstlane_b32 s22, v1
	s_mul_i32 s23, s1, s9
	s_mul_hi_u32 s25, s1, s22
	s_mul_i32 s24, s7, s22
	s_add_i32 s23, s25, s23
	s_add_i32 s23, s23, s24
	s_mul_i32 s26, s1, s22
	s_mul_i32 s25, s22, s23
	s_mul_hi_u32 s27, s22, s26
	s_mul_hi_u32 s24, s22, s23
	s_add_u32 s25, s27, s25
	s_addc_u32 s24, 0, s24
	s_mul_hi_u32 s30, s9, s26
	s_mul_i32 s26, s9, s26
	s_add_u32 s25, s25, s26
	s_mul_hi_u32 s27, s9, s23
	s_addc_u32 s24, s24, s30
	s_addc_u32 s25, s27, 0
	s_mul_i32 s23, s9, s23
	s_add_u32 s23, s24, s23
	s_addc_u32 s24, 0, s25
	s_add_u32 s25, s22, s23
	s_cselect_b64 s[22:23], -1, 0
	s_cmp_lg_u64 s[22:23], 0
	s_addc_u32 s9, s9, s24
	s_mul_i32 s22, s1, s9
	s_mul_hi_u32 s23, s1, s25
	s_add_i32 s22, s23, s22
	s_mul_i32 s7, s7, s25
	s_add_i32 s22, s22, s7
	s_mul_i32 s1, s1, s25
	s_mul_hi_u32 s23, s9, s1
	s_mul_i32 s24, s9, s1
	s_mul_i32 s27, s25, s22
	s_mul_hi_u32 s1, s25, s1
	s_mul_hi_u32 s26, s25, s22
	s_add_u32 s1, s1, s27
	s_addc_u32 s26, 0, s26
	s_add_u32 s1, s1, s24
	s_mul_hi_u32 s7, s9, s22
	s_addc_u32 s1, s26, s23
	s_addc_u32 s7, s7, 0
	s_mul_i32 s22, s9, s22
	s_add_u32 s1, s1, s22
	s_addc_u32 s7, 0, s7
	s_add_u32 s1, s25, s1
	s_cselect_b64 s[22:23], -1, 0
	s_cmp_lg_u64 s[22:23], 0
	s_addc_u32 s7, s9, s7
	s_add_u32 s22, s8, 0
	s_addc_u32 s23, 0, 0
	s_xor_b64 s[22:23], s[22:23], 0
	s_mul_i32 s24, s22, s7
	s_mul_hi_u32 s25, s22, s1
	s_mul_hi_u32 s9, s22, s7
	s_add_u32 s24, s25, s24
	s_addc_u32 s9, 0, s9
	s_mul_hi_u32 s26, s23, s1
	s_mul_i32 s1, s23, s1
	s_add_u32 s1, s24, s1
	s_mul_hi_u32 s25, s23, s7
	s_addc_u32 s1, s9, s26
	s_addc_u32 s9, s25, 0
	s_mul_i32 s7, s23, s7
	s_add_u32 s1, s1, s7
	s_addc_u32 s7, 0, s9
	s_mul_i32 s7, s20, s7
	s_mul_hi_u32 s9, s20, s1
	s_add_i32 s7, s9, s7
	s_mul_i32 s9, s21, s1
	s_add_i32 s7, s7, s9
	s_sub_i32 s9, s23, s7
	s_mul_i32 s1, s20, s1
	s_sub_u32 s1, s22, s1
	s_cselect_b64 s[24:25], -1, 0
	s_cmp_lg_u64 s[24:25], 0
	s_subb_u32 s9, s9, s21
	s_sub_u32 s22, s1, s20
	s_cselect_b64 s[26:27], -1, 0
	s_cmp_lg_u64 s[26:27], 0
	s_subb_u32 s30, s9, 0
	s_cmp_ge_u32 s30, s21
	s_cselect_b32 s31, -1, 0
	s_cmp_ge_u32 s22, s20
	s_cselect_b32 s33, -1, 0
	s_cmp_eq_u32 s30, s21
	s_cselect_b32 s31, s33, s31
	s_cmp_lg_u64 s[26:27], 0
	s_subb_u32 s9, s9, s21
	s_sub_u32 s33, s22, s20
	s_cselect_b64 s[26:27], -1, 0
	s_cmp_lg_u64 s[26:27], 0
	s_subb_u32 s9, s9, 0
	s_cmp_lg_u32 s31, 0
	s_cselect_b32 s22, s33, s22
	s_cselect_b32 s9, s9, s30
	s_cmp_lg_u64 s[24:25], 0
	s_subb_u32 s7, s23, s7
	s_cmp_ge_u32 s7, s21
	s_cselect_b32 s23, -1, 0
	s_cmp_ge_u32 s1, s20
	s_cselect_b32 s20, -1, 0
	s_cmp_eq_u32 s7, s21
	s_cselect_b32 s20, s20, s23
	s_cmp_lg_u32 s20, 0
	s_cselect_b32 s21, s9, s7
	s_cselect_b32 s20, s22, s1
	s_xor_b64 s[20:21], s[20:21], 0
	s_sub_u32 s30, s20, 0
	s_subb_u32 s31, s21, 0
	s_cbranch_execnz .LBB20_6
.LBB20_5:
	v_cvt_f32_u32_e32 v1, s0
	s_sub_i32 s1, 0, s0
	s_mov_b32 s31, 0
	v_rcp_iflag_f32_e32 v1, v1
	v_mul_f32_e32 v1, 0x4f7ffffe, v1
	v_cvt_u32_f32_e32 v1, v1
	v_readfirstlane_b32 s2, v1
	s_mul_i32 s1, s1, s2
	s_mul_hi_u32 s1, s2, s1
	s_add_i32 s2, s2, s1
	s_mul_hi_u32 s1, s8, s2
	s_mul_i32 s1, s1, s0
	s_sub_i32 s1, s8, s1
	s_sub_i32 s2, s1, s0
	s_cmp_ge_u32 s1, s0
	s_cselect_b32 s1, s2, s1
	s_sub_i32 s2, s1, s0
	s_cmp_ge_u32 s1, s0
	s_cselect_b32 s30, s2, s1
.LBB20_6:
	s_load_dwordx2 s[34:35], s[4:5], 0xa0
	s_waitcnt lgkmcnt(0)
	v_cmp_le_f32_e64 s[0:1], s19, 0
	s_and_b64 vcc, exec, s[0:1]
	v_mov_b32_e32 v2, 1.0
	s_cbranch_vccnz .LBB20_8
; %bb.7:
	s_load_dword s2, s[4:5], 0x28
	s_load_dwordx2 s[0:1], s[4:5], 0x98
	s_add_i32 s3, s10, 1
	s_waitcnt lgkmcnt(0)
	s_sub_i32 s7, s10, s2
	v_mov_b32_e32 v2, s0
	s_lshl_b32 s0, s7, 1
	s_or_b32 s7, s0, 1
	s_cmp_lt_u32 s10, s2
	s_cselect_b64 vcc, -1, 0
	v_mov_b32_e32 v1, s1
	s_and_b64 s[0:1], vcc, exec
	s_cselect_b32 s0, s3, s7
	v_cndmask_b32_e32 v1, v1, v2, vcc
	v_cvt_f32_i32_e32 v2, s0
	v_cmp_neq_f32_e32 vcc, 1.0, v1
	s_mov_b32 s0, 0x3f2aaaab
	s_movk_i32 s2, 0x204
	v_cndmask_b32_e32 v2, 1.0, v2, vcc
	v_cmp_neq_f32_e32 vcc, 0, v2
	v_cndmask_b32_e32 v1, 1.0, v1, vcc
	v_frexp_mant_f32_e64 v3, |v1|
	v_cmp_gt_f32_e32 vcc, s0, v3
	v_cndmask_b32_e64 v4, 1.0, 2.0, vcc
	v_mul_f32_e32 v3, v3, v4
	v_add_f32_e32 v4, 1.0, v3
	v_rcp_f32_e32 v5, v4
	v_add_f32_e32 v6, -1.0, v3
	v_add_f32_e32 v7, -1.0, v4
	v_sub_f32_e32 v3, v3, v7
	v_mul_f32_e32 v7, v6, v5
	v_mul_f32_e32 v8, v4, v7
	v_fma_f32 v4, v7, v4, -v8
	v_fmac_f32_e32 v4, v7, v3
	v_add_f32_e32 v3, v8, v4
	v_sub_f32_e32 v9, v6, v3
	v_sub_f32_e32 v8, v3, v8
	;; [unrolled: 1-line block ×5, first 2 shown]
	v_add_f32_e32 v3, v4, v3
	v_add_f32_e32 v3, v9, v3
	v_mul_f32_e32 v3, v5, v3
	v_add_f32_e32 v5, v7, v3
	v_sub_f32_e32 v4, v5, v7
	v_sub_f32_e32 v6, v3, v4
	v_mul_f32_e32 v3, v5, v5
	v_fma_f32 v4, v5, v5, -v3
	v_add_f32_e32 v7, v6, v6
	v_fmac_f32_e32 v4, v5, v7
	v_add_f32_e32 v7, v3, v4
	v_mov_b32_e32 v8, 0x3e91f4c4
	v_sub_f32_e32 v3, v7, v3
	v_fmac_f32_e32 v8, 0x3e76c4e1, v7
	v_mov_b32_e32 v9, 0x3ecccdef
	v_sub_f32_e32 v3, v4, v3
	v_mul_f32_e32 v4, v5, v7
	v_fmac_f32_e32 v9, v7, v8
	v_fma_f32 v8, v7, v5, -v4
	v_fmac_f32_e32 v8, v7, v6
	v_fmac_f32_e32 v8, v3, v5
	v_add_f32_e32 v10, v4, v8
	v_sub_f32_e32 v4, v10, v4
	v_sub_f32_e32 v8, v8, v4
	v_mul_f32_e32 v4, v7, v9
	v_fma_f32 v7, v7, v9, -v4
	v_fmac_f32_e32 v7, v3, v9
	v_add_f32_e32 v9, v4, v7
	v_sub_f32_e32 v3, v9, v4
	v_sub_f32_e32 v7, v7, v3
	v_cvt_f64_f32_e64 v[3:4], |v1|
	v_add_f32_e32 v11, 0x3f2aaaaa, v9
	v_add_f32_e32 v12, 0xbf2aaaaa, v11
	;; [unrolled: 1-line block ×3, first 2 shown]
	v_frexp_exp_i32_f64_e32 v3, v[3:4]
	v_sub_f32_e32 v9, v9, v12
	v_add_f32_e32 v4, v7, v9
	v_add_f32_e32 v7, v11, v4
	v_sub_f32_e32 v9, v11, v7
	v_add_f32_e32 v4, v4, v9
	v_mul_f32_e32 v9, v10, v7
	v_fma_f32 v11, v10, v7, -v9
	v_subbrev_co_u32_e32 v3, vcc, 0, v3, vcc
	v_cvt_f32_i32_e32 v3, v3
	v_fmac_f32_e32 v11, v10, v4
	s_mov_b32 s0, 0x3f317218
	v_fmac_f32_e32 v11, v8, v7
	v_mul_f32_e32 v4, 0x3f317218, v3
	v_fma_f32 v7, v3, s0, -v4
	v_fmac_f32_e32 v7, 0xb102e308, v3
	v_ldexp_f32 v3, v6, 1
	v_add_f32_e32 v6, v4, v7
	v_sub_f32_e32 v4, v6, v4
	v_ldexp_f32 v5, v5, 1
	v_sub_f32_e32 v4, v7, v4
	v_add_f32_e32 v7, v9, v11
	v_sub_f32_e32 v8, v7, v9
	v_add_f32_e32 v9, v5, v7
	v_sub_f32_e32 v8, v11, v8
	v_sub_f32_e32 v5, v9, v5
	;; [unrolled: 1-line block ×3, first 2 shown]
	v_add_f32_e32 v3, v3, v8
	v_add_f32_e32 v3, v3, v5
	;; [unrolled: 1-line block ×3, first 2 shown]
	v_sub_f32_e32 v7, v5, v9
	v_sub_f32_e32 v3, v3, v7
	v_add_f32_e32 v7, v6, v5
	v_sub_f32_e32 v8, v7, v6
	v_sub_f32_e32 v9, v7, v8
	;; [unrolled: 1-line block ×4, first 2 shown]
	v_add_f32_e32 v5, v5, v6
	v_add_f32_e32 v6, v4, v3
	v_sub_f32_e32 v8, v6, v4
	v_sub_f32_e32 v9, v6, v8
	;; [unrolled: 1-line block ×4, first 2 shown]
	v_add_f32_e32 v3, v3, v4
	v_add_f32_e32 v4, v6, v5
	;; [unrolled: 1-line block ×3, first 2 shown]
	v_sub_f32_e32 v6, v5, v7
	v_sub_f32_e32 v4, v4, v6
	v_add_f32_e32 v3, v3, v4
	v_add_f32_e32 v4, v5, v3
	v_sub_f32_e32 v5, v4, v5
	v_sub_f32_e32 v3, v3, v5
	v_mul_f32_e32 v5, v2, v4
	v_fma_f32 v4, v2, v4, -v5
	v_fmac_f32_e32 v4, v2, v3
	v_add_f32_e32 v3, v5, v4
	v_cmp_class_f32_e64 vcc, v5, s2
	v_sub_f32_e32 v6, v3, v5
	v_cndmask_b32_e32 v3, v3, v5, vcc
	s_mov_b32 s1, 0x42b17218
	v_mov_b32_e32 v5, 0x37000000
	v_cmp_eq_f32_e32 vcc, s1, v3
	v_cndmask_b32_e32 v5, 0, v5, vcc
	v_sub_f32_e32 v4, v4, v6
	v_sub_f32_e32 v6, v3, v5
	s_mov_b32 s3, 0x3fb8aa3b
	v_mul_f32_e32 v7, 0x3fb8aa3b, v6
	v_fma_f32 v8, v6, s3, -v7
	v_rndne_f32_e32 v9, v7
	v_fmac_f32_e32 v8, 0x32a5705f, v6
	v_sub_f32_e32 v7, v7, v9
	v_add_f32_e32 v7, v7, v8
	v_exp_f32_e32 v7, v7
	v_cvt_i32_f32_e32 v8, v9
	s_mov_b32 s0, 0x7f800000
	v_cmp_neq_f32_e64 vcc, |v3|, s0
	s_mov_b32 s0, 0xc2ce8ed0
	v_cndmask_b32_e32 v3, 0, v4, vcc
	v_ldexp_f32 v4, v7, v8
	v_cmp_ngt_f32_e32 vcc, s0, v6
	v_add_f32_e32 v3, v5, v3
	v_cndmask_b32_e32 v4, 0, v4, vcc
	v_mov_b32_e32 v5, 0x7f800000
	v_cmp_nlt_f32_e32 vcc, s1, v6
	v_cndmask_b32_e32 v4, v5, v4, vcc
	v_fma_f32 v3, v4, v3, v4
	v_cmp_class_f32_e64 vcc, v4, s2
	v_cndmask_b32_e32 v3, v3, v4, vcc
	v_trunc_f32_e32 v4, v2
	v_cmp_eq_f32_e32 vcc, v4, v2
	v_mul_f32_e32 v4, 0.5, v2
	v_trunc_f32_e32 v7, v4
	v_cmp_neq_f32_e64 s[0:1], v7, v4
	s_and_b64 s[0:1], vcc, s[0:1]
	v_cndmask_b32_e64 v4, 1.0, v1, s[0:1]
	s_brev_b32 s7, -2
	v_mov_b32_e32 v6, 0x7fc00000
	v_bfi_b32 v3, s7, v3, v4
	v_cndmask_b32_e32 v4, v6, v3, vcc
	v_cmp_gt_f32_e32 vcc, 0, v1
	v_cndmask_b32_e32 v3, v3, v4, vcc
	v_cmp_class_f32_e64 s[20:21], v1, s2
	v_cmp_eq_f32_e32 vcc, 0, v1
	v_cmp_gt_f32_e64 s[2:3], 0, v2
	s_xor_b64 s[2:3], s[2:3], vcc
	v_cndmask_b32_e64 v2, v5, 0, s[2:3]
	v_cndmask_b32_e64 v4, 0, v1, s[0:1]
	v_bfi_b32 v2, s7, v2, v4
	s_or_b64 vcc, vcc, s[20:21]
	v_cndmask_b32_e32 v2, v3, v2, vcc
	v_cmp_o_f32_e32 vcc, v1, v1
	v_cndmask_b32_e32 v2, v6, v2, vcc
.LBB20_8:
	s_load_dwordx8 s[20:27], s[4:5], 0x0
	s_waitcnt lgkmcnt(0)
	s_cmp_lg_u64 s[24:25], 0
	s_cselect_b64 s[4:5], -1, 0
	s_cmp_eq_u64 s[24:25], 0
	s_cbranch_scc1 .LBB20_12
; %bb.9:
	s_lshl_b64 s[0:1], s[10:11], 2
	s_add_u32 s0, s24, s0
	s_addc_u32 s1, s25, s1
	s_load_dword s2, s[0:1], 0x0
	s_branch .LBB20_13
.LBB20_10:
                                        ; implicit-def: $sgpr28_sgpr29
	s_branch .LBB20_2
.LBB20_11:
                                        ; implicit-def: $sgpr30_sgpr31
	s_branch .LBB20_5
.LBB20_12:
	s_mov_b32 s2, 0xff800000
.LBB20_13:
	s_mul_i32 s0, s35, s8
	s_add_i32 s0, s0, s10
	s_mul_i32 s0, s0, s34
	s_add_i32 s8, s0, s6
	s_ashr_i32 s9, s8, 31
	s_lshl_b64 s[0:1], s[8:9], 8
	s_add_u32 s0, s20, s0
	s_addc_u32 s1, s21, s1
	v_lshlrev_b32_e32 v1, 2, v0
	global_load_dword v3, v1, s[0:1]
	s_cmp_eq_u64 s[22:23], 0
	s_cselect_b64 s[0:1], -1, 0
	s_cmp_lg_u64 s[22:23], 0
	v_mov_b32_e32 v8, 0
	s_cbranch_scc0 .LBB20_15
; %bb.14:
	s_mul_i32 s3, s13, s6
	s_mul_hi_u32 s7, s12, s6
	s_add_i32 s7, s7, s3
	s_mul_i32 s3, s12, s6
	s_mul_i32 s6, s28, s15
	s_mul_hi_u32 s12, s28, s14
	s_add_i32 s6, s12, s6
	s_mul_i32 s12, s29, s14
	s_add_i32 s6, s6, s12
	s_mul_i32 s12, s28, s14
	s_add_u32 s3, s12, s3
	s_addc_u32 s7, s6, s7
	s_mul_i32 s6, s30, s17
	s_mul_hi_u32 s12, s30, s16
	s_add_i32 s6, s12, s6
	s_mul_i32 s12, s31, s16
	s_add_i32 s12, s6, s12
	s_mul_i32 s6, s30, s16
	s_add_u32 s6, s3, s6
	s_addc_u32 s7, s7, s12
	s_lshr_b64 s[6:7], s[6:7], 2
	s_and_b64 s[0:1], s[0:1], exec
	s_cselect_b32 s1, 0, s7
	s_cselect_b32 s0, 0, s6
	s_lshl_b64 s[0:1], s[0:1], 2
	s_add_u32 s0, s22, s0
	s_addc_u32 s1, s23, s1
	global_load_dword v4, v1, s[0:1]
	s_waitcnt vmcnt(0)
	v_mul_f32_e32 v8, v2, v4
.LBB20_15:
	s_waitcnt vmcnt(0)
	v_fmac_f32_e32 v8, s18, v3
	v_mbcnt_lo_u32_b32 v3, -1, 0
	v_mbcnt_hi_u32_b32 v7, -1, v3
	v_and_b32_e32 v3, 0x60, v7
	v_add_u32_e32 v10, 32, v3
	v_xor_b32_e32 v3, 16, v7
	v_cmp_lt_i32_e32 vcc, v3, v10
	s_waitcnt lgkmcnt(0)
	v_max_f32_e64 v2, s2, s2
	v_cndmask_b32_e32 v3, v7, v3, vcc
	v_max_f32_e32 v2, v2, v8
	v_lshlrev_b32_e32 v3, 2, v3
	ds_bpermute_b32 v4, v3, v2
	s_waitcnt lgkmcnt(0)
	v_max_f32_e32 v4, v4, v4
	v_max_f32_e32 v2, v2, v4
	v_xor_b32_e32 v4, 8, v7
	v_cmp_lt_i32_e32 vcc, v4, v10
	v_cndmask_b32_e32 v4, v7, v4, vcc
	v_lshlrev_b32_e32 v4, 2, v4
	ds_bpermute_b32 v5, v4, v2
	s_waitcnt lgkmcnt(0)
	v_max_f32_e32 v5, v5, v5
	v_max_f32_e32 v2, v2, v5
	v_xor_b32_e32 v5, 4, v7
	v_cmp_lt_i32_e32 vcc, v5, v10
	v_cndmask_b32_e32 v5, v7, v5, vcc
	;; [unrolled: 8-line block ×3, first 2 shown]
	v_lshlrev_b32_e32 v6, 2, v2
	ds_bpermute_b32 v11, v6, v9
	v_lshl_add_u32 v2, v0, 2, 0
	ds_write_b32 v2, v8 offset:128
	v_and_b32_e32 v8, 31, v0
	v_lshrrev_b32_e32 v0, 3, v0
	s_waitcnt lgkmcnt(1)
	v_max_f32_e32 v11, v11, v11
	v_max_f32_e32 v9, v9, v11
	v_xor_b32_e32 v11, 1, v7
	v_cmp_lt_i32_e32 vcc, v11, v10
	v_cndmask_b32_e32 v7, v7, v11, vcc
	v_lshlrev_b32_e32 v7, 2, v7
	ds_bpermute_b32 v10, v7, v9
	v_cmp_eq_u32_e32 vcc, 0, v8
	s_and_saveexec_b64 s[0:1], vcc
	s_xor_b64 s[0:1], exec, s[0:1]
	s_cbranch_execz .LBB20_17
; %bb.16:
	s_waitcnt lgkmcnt(0)
	v_max_f32_e32 v10, v10, v10
	v_max_f32_e32 v9, v9, v9
	;; [unrolled: 1-line block ×3, first 2 shown]
	v_add_u32_e32 v10, 0, v0
	ds_write_b32 v10, v9
.LBB20_17:
	s_or_b64 exec, exec, s[0:1]
	v_cmp_gt_u32_e64 s[0:1], 2, v8
	v_mov_b32_e32 v9, 0xff800000
	v_lshl_add_u32 v8, v8, 2, 0
	s_waitcnt lgkmcnt(0)
	s_barrier
	s_and_saveexec_b64 s[2:3], s[0:1]
; %bb.18:
	ds_read_b32 v9, v8
; %bb.19:
	s_or_b64 exec, exec, s[2:3]
	s_waitcnt lgkmcnt(0)
	ds_bpermute_b32 v10, v3, v9
	v_max_f32_e32 v9, v9, v9
	ds_read_b32 v11, v2 offset:128
	s_mov_b32 s2, 0x3fb8aa3b
	s_mov_b32 s6, 0x42b17218
	s_waitcnt lgkmcnt(1)
	v_max_f32_e32 v10, v10, v10
	v_max_f32_e32 v9, v9, v10
	ds_bpermute_b32 v10, v4, v9
	s_waitcnt lgkmcnt(0)
	v_max_f32_e32 v10, v10, v10
	v_max_f32_e32 v9, v9, v10
	ds_bpermute_b32 v10, v5, v9
	;; [unrolled: 4-line block ×4, first 2 shown]
	s_waitcnt lgkmcnt(0)
	v_max_f32_e32 v10, v10, v10
	v_max_f32_e32 v9, v9, v10
	v_sub_f32_e32 v10, v11, v9
	v_mul_f32_e32 v11, 0x3fb8aa3b, v10
	v_fma_f32 v12, v10, s2, -v11
	v_rndne_f32_e32 v13, v11
	v_fmac_f32_e32 v12, 0x32a5705f, v10
	v_sub_f32_e32 v11, v11, v13
	v_add_f32_e32 v11, v11, v12
	v_cvt_i32_f32_e32 v13, v13
	v_exp_f32_e32 v11, v11
	s_mov_b32 s2, 0xc2ce8ed0
	v_cmp_ngt_f32_e64 s[2:3], s2, v10
	v_mov_b32_e32 v12, 0x7f800000
	v_ldexp_f32 v11, v11, v13
	v_cndmask_b32_e64 v11, 0, v11, s[2:3]
	v_cmp_nlt_f32_e64 s[2:3], s6, v10
	v_cndmask_b32_e64 v12, v12, v11, s[2:3]
	ds_bpermute_b32 v10, v3, v12
	ds_write_b32 v2, v12 offset:128
	s_waitcnt lgkmcnt(1)
	v_add_f32_e32 v10, v12, v10
	ds_bpermute_b32 v11, v4, v10
	s_waitcnt lgkmcnt(0)
	v_add_f32_e32 v10, v10, v11
	ds_bpermute_b32 v11, v5, v10
	;; [unrolled: 3-line block ×4, first 2 shown]
	s_and_saveexec_b64 s[2:3], vcc
	s_cbranch_execz .LBB20_21
; %bb.20:
	s_waitcnt lgkmcnt(0)
	v_add_f32_e32 v10, v10, v11
	v_add_u32_e32 v0, 0, v0
	ds_write_b32 v0, v10
.LBB20_21:
	s_or_b64 exec, exec, s[2:3]
	v_mov_b32_e32 v0, 0
	s_waitcnt lgkmcnt(0)
	s_barrier
	s_and_saveexec_b64 s[2:3], s[0:1]
; %bb.22:
	ds_read_b32 v0, v8
; %bb.23:
	s_or_b64 exec, exec, s[2:3]
	s_waitcnt lgkmcnt(0)
	ds_bpermute_b32 v3, v3, v0
	s_lshl_b64 s[0:1], s[8:9], 6
	s_andn2_b64 vcc, exec, s[4:5]
	s_waitcnt lgkmcnt(0)
	v_add_f32_e32 v0, v0, v3
	ds_bpermute_b32 v3, v4, v0
	s_waitcnt lgkmcnt(0)
	v_add_f32_e32 v0, v0, v3
	ds_bpermute_b32 v3, v5, v0
	;; [unrolled: 3-line block ×4, first 2 shown]
	s_waitcnt lgkmcnt(0)
	v_add_f32_e32 v0, v0, v3
	s_cbranch_vccnz .LBB20_25
; %bb.24:
	s_lshl_b64 s[2:3], s[10:11], 2
	s_add_u32 s2, s24, s2
	s_addc_u32 s3, s25, s3
	s_load_dword s2, s[2:3], 0x0
	s_mov_b32 s3, 0x3fb8aa3b
	s_waitcnt lgkmcnt(0)
	v_sub_f32_e32 v3, s2, v9
	v_mul_f32_e32 v4, 0x3fb8aa3b, v3
	v_fma_f32 v5, v3, s3, -v4
	v_rndne_f32_e32 v6, v4
	v_fmac_f32_e32 v5, 0x32a5705f, v3
	v_sub_f32_e32 v4, v4, v6
	v_add_f32_e32 v4, v4, v5
	v_cvt_i32_f32_e32 v6, v6
	v_exp_f32_e32 v4, v4
	s_mov_b32 s2, 0xc2ce8ed0
	s_mov_b32 s3, 0x42b17218
	v_cmp_ngt_f32_e32 vcc, s2, v3
	v_ldexp_f32 v4, v4, v6
	v_cndmask_b32_e32 v4, 0, v4, vcc
	v_mov_b32_e32 v5, 0x7f800000
	v_cmp_nlt_f32_e32 vcc, s3, v3
	v_cndmask_b32_e32 v3, v5, v4, vcc
	v_add_f32_e32 v0, v0, v3
.LBB20_25:
	v_div_scale_f32 v3, s[2:3], v0, v0, 1.0
	v_div_scale_f32 v4, vcc, 1.0, v0, 1.0
	ds_read_b32 v2, v2 offset:128
	s_lshl_b64 s[0:1], s[0:1], 2
	s_add_u32 s0, s26, s0
	s_addc_u32 s1, s27, s1
	v_rcp_f32_e32 v5, v3
	v_fma_f32 v6, -v3, v5, 1.0
	v_fmac_f32_e32 v5, v6, v5
	v_mul_f32_e32 v6, v4, v5
	v_fma_f32 v7, -v3, v6, v4
	v_fmac_f32_e32 v6, v7, v5
	v_fma_f32 v3, -v3, v6, v4
	v_div_fmas_f32 v3, v3, v5, v6
	v_div_fixup_f32 v0, v3, v0, 1.0
	s_waitcnt lgkmcnt(0)
	v_mul_f32_e32 v0, v0, v2
	global_store_dword v1, v0, s[0:1]
	s_endpgm
	.section	.rodata,"a",@progbits
	.p2align	6, 0x0
	.amdhsa_kernel _ZL12soft_max_f32ILb1ELi64ELi64EfEvPKfPKT2_S1_Pf15soft_max_params
		.amdhsa_group_segment_fixed_size 0
		.amdhsa_private_segment_fixed_size 0
		.amdhsa_kernarg_size 416
		.amdhsa_user_sgpr_count 6
		.amdhsa_user_sgpr_private_segment_buffer 1
		.amdhsa_user_sgpr_dispatch_ptr 0
		.amdhsa_user_sgpr_queue_ptr 0
		.amdhsa_user_sgpr_kernarg_segment_ptr 1
		.amdhsa_user_sgpr_dispatch_id 0
		.amdhsa_user_sgpr_flat_scratch_init 0
		.amdhsa_user_sgpr_private_segment_size 0
		.amdhsa_uses_dynamic_stack 0
		.amdhsa_system_sgpr_private_segment_wavefront_offset 0
		.amdhsa_system_sgpr_workgroup_id_x 1
		.amdhsa_system_sgpr_workgroup_id_y 1
		.amdhsa_system_sgpr_workgroup_id_z 1
		.amdhsa_system_sgpr_workgroup_info 0
		.amdhsa_system_vgpr_workitem_id 0
		.amdhsa_next_free_vgpr 14
		.amdhsa_next_free_sgpr 36
		.amdhsa_reserve_vcc 1
		.amdhsa_reserve_flat_scratch 0
		.amdhsa_float_round_mode_32 0
		.amdhsa_float_round_mode_16_64 0
		.amdhsa_float_denorm_mode_32 3
		.amdhsa_float_denorm_mode_16_64 3
		.amdhsa_dx10_clamp 1
		.amdhsa_ieee_mode 1
		.amdhsa_fp16_overflow 0
		.amdhsa_exception_fp_ieee_invalid_op 0
		.amdhsa_exception_fp_denorm_src 0
		.amdhsa_exception_fp_ieee_div_zero 0
		.amdhsa_exception_fp_ieee_overflow 0
		.amdhsa_exception_fp_ieee_underflow 0
		.amdhsa_exception_fp_ieee_inexact 0
		.amdhsa_exception_int_div_zero 0
	.end_amdhsa_kernel
	.section	.text._ZL12soft_max_f32ILb1ELi64ELi64EfEvPKfPKT2_S1_Pf15soft_max_params,"axG",@progbits,_ZL12soft_max_f32ILb1ELi64ELi64EfEvPKfPKT2_S1_Pf15soft_max_params,comdat
.Lfunc_end20:
	.size	_ZL12soft_max_f32ILb1ELi64ELi64EfEvPKfPKT2_S1_Pf15soft_max_params, .Lfunc_end20-_ZL12soft_max_f32ILb1ELi64ELi64EfEvPKfPKT2_S1_Pf15soft_max_params
                                        ; -- End function
	.set _ZL12soft_max_f32ILb1ELi64ELi64EfEvPKfPKT2_S1_Pf15soft_max_params.num_vgpr, 14
	.set _ZL12soft_max_f32ILb1ELi64ELi64EfEvPKfPKT2_S1_Pf15soft_max_params.num_agpr, 0
	.set _ZL12soft_max_f32ILb1ELi64ELi64EfEvPKfPKT2_S1_Pf15soft_max_params.numbered_sgpr, 36
	.set _ZL12soft_max_f32ILb1ELi64ELi64EfEvPKfPKT2_S1_Pf15soft_max_params.num_named_barrier, 0
	.set _ZL12soft_max_f32ILb1ELi64ELi64EfEvPKfPKT2_S1_Pf15soft_max_params.private_seg_size, 0
	.set _ZL12soft_max_f32ILb1ELi64ELi64EfEvPKfPKT2_S1_Pf15soft_max_params.uses_vcc, 1
	.set _ZL12soft_max_f32ILb1ELi64ELi64EfEvPKfPKT2_S1_Pf15soft_max_params.uses_flat_scratch, 0
	.set _ZL12soft_max_f32ILb1ELi64ELi64EfEvPKfPKT2_S1_Pf15soft_max_params.has_dyn_sized_stack, 0
	.set _ZL12soft_max_f32ILb1ELi64ELi64EfEvPKfPKT2_S1_Pf15soft_max_params.has_recursion, 0
	.set _ZL12soft_max_f32ILb1ELi64ELi64EfEvPKfPKT2_S1_Pf15soft_max_params.has_indirect_call, 0
	.section	.AMDGPU.csdata,"",@progbits
; Kernel info:
; codeLenInByte = 3584
; TotalNumSgprs: 40
; NumVgprs: 14
; ScratchSize: 0
; MemoryBound: 0
; FloatMode: 240
; IeeeMode: 1
; LDSByteSize: 0 bytes/workgroup (compile time only)
; SGPRBlocks: 4
; VGPRBlocks: 3
; NumSGPRsForWavesPerEU: 40
; NumVGPRsForWavesPerEU: 14
; Occupancy: 10
; WaveLimiterHint : 1
; COMPUTE_PGM_RSRC2:SCRATCH_EN: 0
; COMPUTE_PGM_RSRC2:USER_SGPR: 6
; COMPUTE_PGM_RSRC2:TRAP_HANDLER: 0
; COMPUTE_PGM_RSRC2:TGID_X_EN: 1
; COMPUTE_PGM_RSRC2:TGID_Y_EN: 1
; COMPUTE_PGM_RSRC2:TGID_Z_EN: 1
; COMPUTE_PGM_RSRC2:TIDIG_COMP_CNT: 0
	.section	.text._ZL12soft_max_f32ILb1ELi32ELi32EfEvPKfPKT2_S1_Pf15soft_max_params,"axG",@progbits,_ZL12soft_max_f32ILb1ELi32ELi32EfEvPKfPKT2_S1_Pf15soft_max_params,comdat
	.globl	_ZL12soft_max_f32ILb1ELi32ELi32EfEvPKfPKT2_S1_Pf15soft_max_params ; -- Begin function _ZL12soft_max_f32ILb1ELi32ELi32EfEvPKfPKT2_S1_Pf15soft_max_params
	.p2align	8
	.type	_ZL12soft_max_f32ILb1ELi32ELi32EfEvPKfPKT2_S1_Pf15soft_max_params,@function
_ZL12soft_max_f32ILb1ELi32ELi32EfEvPKfPKT2_S1_Pf15soft_max_params: ; @_ZL12soft_max_f32ILb1ELi32ELi32EfEvPKfPKT2_S1_Pf15soft_max_params
; %bb.0:
	s_load_dwordx8 s[12:19], s[4:5], 0x68
	s_load_dwordx2 s[0:1], s[4:5], 0x88
	s_mov_b32 s11, 0
	s_mov_b32 s2, s11
	s_mov_b32 s10, s7
	s_waitcnt lgkmcnt(0)
	s_mov_b32 s3, s19
	s_cmp_lg_u64 s[2:3], 0
	s_cbranch_scc0 .LBB21_10
; %bb.1:
	s_ashr_i32 s2, s19, 31
	s_add_u32 s20, s18, s2
	s_mov_b32 s3, s2
	s_addc_u32 s21, s19, s2
	s_xor_b64 s[20:21], s[20:21], s[2:3]
	v_cvt_f32_u32_e32 v1, s20
	v_cvt_f32_u32_e32 v2, s21
	s_sub_u32 s7, 0, s20
	s_subb_u32 s9, 0, s21
	v_madmk_f32 v1, v2, 0x4f800000, v1
	v_rcp_f32_e32 v1, v1
	v_mul_f32_e32 v1, 0x5f7ffffc, v1
	v_mul_f32_e32 v2, 0x2f800000, v1
	v_trunc_f32_e32 v2, v2
	v_madmk_f32 v1, v2, 0xcf800000, v1
	v_cvt_u32_f32_e32 v2, v2
	v_cvt_u32_f32_e32 v1, v1
	v_readfirstlane_b32 s19, v2
	v_readfirstlane_b32 s22, v1
	s_mul_i32 s23, s7, s19
	s_mul_hi_u32 s25, s7, s22
	s_mul_i32 s24, s9, s22
	s_add_i32 s23, s25, s23
	s_add_i32 s23, s23, s24
	s_mul_i32 s26, s7, s22
	s_mul_i32 s25, s22, s23
	s_mul_hi_u32 s27, s22, s26
	s_mul_hi_u32 s24, s22, s23
	s_add_u32 s25, s27, s25
	s_addc_u32 s24, 0, s24
	s_mul_hi_u32 s28, s19, s26
	s_mul_i32 s26, s19, s26
	s_add_u32 s25, s25, s26
	s_mul_hi_u32 s27, s19, s23
	s_addc_u32 s24, s24, s28
	s_addc_u32 s25, s27, 0
	s_mul_i32 s23, s19, s23
	s_add_u32 s23, s24, s23
	s_addc_u32 s24, 0, s25
	s_add_u32 s25, s22, s23
	s_cselect_b64 s[22:23], -1, 0
	s_cmp_lg_u64 s[22:23], 0
	s_addc_u32 s19, s19, s24
	s_mul_i32 s22, s7, s19
	s_mul_hi_u32 s23, s7, s25
	s_add_i32 s22, s23, s22
	s_mul_i32 s9, s9, s25
	s_add_i32 s22, s22, s9
	s_mul_i32 s7, s7, s25
	s_mul_hi_u32 s23, s19, s7
	s_mul_i32 s24, s19, s7
	s_mul_i32 s27, s25, s22
	s_mul_hi_u32 s7, s25, s7
	s_mul_hi_u32 s26, s25, s22
	s_add_u32 s7, s7, s27
	s_addc_u32 s26, 0, s26
	s_add_u32 s7, s7, s24
	s_mul_hi_u32 s9, s19, s22
	s_addc_u32 s7, s26, s23
	s_addc_u32 s9, s9, 0
	s_mul_i32 s22, s19, s22
	s_add_u32 s7, s7, s22
	s_addc_u32 s9, 0, s9
	s_add_u32 s7, s25, s7
	s_cselect_b64 s[22:23], -1, 0
	s_cmp_lg_u64 s[22:23], 0
	s_addc_u32 s9, s19, s9
	s_add_u32 s22, s10, 0
	s_addc_u32 s23, 0, 0
	s_xor_b64 s[22:23], s[22:23], 0
	s_mul_i32 s24, s22, s9
	s_mul_hi_u32 s25, s22, s7
	s_mul_hi_u32 s19, s22, s9
	s_add_u32 s24, s25, s24
	s_addc_u32 s19, 0, s19
	s_mul_hi_u32 s26, s23, s7
	s_mul_i32 s7, s23, s7
	s_add_u32 s7, s24, s7
	s_mul_hi_u32 s25, s23, s9
	s_addc_u32 s7, s19, s26
	s_addc_u32 s19, s25, 0
	s_mul_i32 s9, s23, s9
	s_add_u32 s7, s7, s9
	s_addc_u32 s9, 0, s19
	s_mul_i32 s9, s20, s9
	s_mul_hi_u32 s19, s20, s7
	s_add_i32 s9, s19, s9
	s_mul_i32 s19, s21, s7
	s_add_i32 s9, s9, s19
	s_sub_i32 s19, s23, s9
	s_mul_i32 s7, s20, s7
	s_sub_u32 s7, s22, s7
	s_cselect_b64 s[24:25], -1, 0
	s_cmp_lg_u64 s[24:25], 0
	s_subb_u32 s19, s19, s21
	s_sub_u32 s22, s7, s20
	s_cselect_b64 s[26:27], -1, 0
	s_cmp_lg_u64 s[26:27], 0
	s_subb_u32 s28, s19, 0
	s_cmp_ge_u32 s28, s21
	s_cselect_b32 s29, -1, 0
	s_cmp_ge_u32 s22, s20
	s_cselect_b32 s30, -1, 0
	s_cmp_eq_u32 s28, s21
	s_cselect_b32 s29, s30, s29
	s_cmp_lg_u64 s[26:27], 0
	s_subb_u32 s19, s19, s21
	s_sub_u32 s30, s22, s20
	s_cselect_b64 s[26:27], -1, 0
	s_cmp_lg_u64 s[26:27], 0
	s_subb_u32 s19, s19, 0
	s_cmp_lg_u32 s29, 0
	s_cselect_b32 s22, s30, s22
	s_cselect_b32 s19, s19, s28
	s_cmp_lg_u64 s[24:25], 0
	s_subb_u32 s9, s23, s9
	s_cmp_ge_u32 s9, s21
	s_cselect_b32 s23, -1, 0
	s_cmp_ge_u32 s7, s20
	s_cselect_b32 s20, -1, 0
	s_cmp_eq_u32 s9, s21
	s_cselect_b32 s20, s20, s23
	s_cmp_lg_u32 s20, 0
	s_cselect_b32 s21, s19, s9
	s_cselect_b32 s20, s22, s7
	s_xor_b64 s[20:21], s[20:21], 0
	s_sub_u32 s28, s20, 0
	s_subb_u32 s29, s21, 0
	s_cbranch_execnz .LBB21_3
.LBB21_2:
	v_cvt_f32_u32_e32 v1, s18
	s_sub_i32 s2, 0, s18
	s_mov_b32 s29, 0
	v_rcp_iflag_f32_e32 v1, v1
	v_mul_f32_e32 v1, 0x4f7ffffe, v1
	v_cvt_u32_f32_e32 v1, v1
	v_readfirstlane_b32 s3, v1
	s_mul_i32 s2, s2, s3
	s_mul_hi_u32 s2, s3, s2
	s_add_i32 s3, s3, s2
	s_mul_hi_u32 s2, s10, s3
	s_mul_i32 s2, s2, s18
	s_sub_i32 s2, s10, s2
	s_sub_i32 s3, s2, s18
	s_cmp_ge_u32 s2, s18
	s_cselect_b32 s2, s3, s2
	s_sub_i32 s3, s2, s18
	s_cmp_ge_u32 s2, s18
	s_cselect_b32 s28, s3, s2
.LBB21_3:
	s_load_dwordx2 s[18:19], s[4:5], 0x90
	s_mov_b32 s2, 0
	s_mov_b32 s3, s1
	s_cmp_lg_u64 s[2:3], 0
	s_cbranch_scc0 .LBB21_11
; %bb.4:
	s_ashr_i32 s2, s1, 31
	s_add_u32 s20, s0, s2
	s_mov_b32 s3, s2
	s_addc_u32 s21, s1, s2
	s_xor_b64 s[20:21], s[20:21], s[2:3]
	v_cvt_f32_u32_e32 v1, s20
	v_cvt_f32_u32_e32 v2, s21
	s_sub_u32 s1, 0, s20
	s_subb_u32 s7, 0, s21
	v_madmk_f32 v1, v2, 0x4f800000, v1
	v_rcp_f32_e32 v1, v1
	v_mul_f32_e32 v1, 0x5f7ffffc, v1
	v_mul_f32_e32 v2, 0x2f800000, v1
	v_trunc_f32_e32 v2, v2
	v_madmk_f32 v1, v2, 0xcf800000, v1
	v_cvt_u32_f32_e32 v2, v2
	v_cvt_u32_f32_e32 v1, v1
	v_readfirstlane_b32 s9, v2
	v_readfirstlane_b32 s22, v1
	s_mul_i32 s23, s1, s9
	s_mul_hi_u32 s25, s1, s22
	s_mul_i32 s24, s7, s22
	s_add_i32 s23, s25, s23
	s_add_i32 s23, s23, s24
	s_mul_i32 s26, s1, s22
	s_mul_i32 s25, s22, s23
	s_mul_hi_u32 s27, s22, s26
	s_mul_hi_u32 s24, s22, s23
	s_add_u32 s25, s27, s25
	s_addc_u32 s24, 0, s24
	s_mul_hi_u32 s30, s9, s26
	s_mul_i32 s26, s9, s26
	s_add_u32 s25, s25, s26
	s_mul_hi_u32 s27, s9, s23
	s_addc_u32 s24, s24, s30
	s_addc_u32 s25, s27, 0
	s_mul_i32 s23, s9, s23
	s_add_u32 s23, s24, s23
	s_addc_u32 s24, 0, s25
	s_add_u32 s25, s22, s23
	s_cselect_b64 s[22:23], -1, 0
	s_cmp_lg_u64 s[22:23], 0
	s_addc_u32 s9, s9, s24
	s_mul_i32 s22, s1, s9
	s_mul_hi_u32 s23, s1, s25
	s_add_i32 s22, s23, s22
	s_mul_i32 s7, s7, s25
	s_add_i32 s22, s22, s7
	s_mul_i32 s1, s1, s25
	s_mul_hi_u32 s23, s9, s1
	s_mul_i32 s24, s9, s1
	s_mul_i32 s27, s25, s22
	s_mul_hi_u32 s1, s25, s1
	s_mul_hi_u32 s26, s25, s22
	s_add_u32 s1, s1, s27
	s_addc_u32 s26, 0, s26
	s_add_u32 s1, s1, s24
	s_mul_hi_u32 s7, s9, s22
	s_addc_u32 s1, s26, s23
	s_addc_u32 s7, s7, 0
	s_mul_i32 s22, s9, s22
	s_add_u32 s1, s1, s22
	s_addc_u32 s7, 0, s7
	s_add_u32 s1, s25, s1
	s_cselect_b64 s[22:23], -1, 0
	s_cmp_lg_u64 s[22:23], 0
	s_addc_u32 s7, s9, s7
	s_add_u32 s22, s8, 0
	s_addc_u32 s23, 0, 0
	s_xor_b64 s[22:23], s[22:23], 0
	s_mul_i32 s24, s22, s7
	s_mul_hi_u32 s25, s22, s1
	s_mul_hi_u32 s9, s22, s7
	s_add_u32 s24, s25, s24
	s_addc_u32 s9, 0, s9
	s_mul_hi_u32 s26, s23, s1
	s_mul_i32 s1, s23, s1
	s_add_u32 s1, s24, s1
	s_mul_hi_u32 s25, s23, s7
	s_addc_u32 s1, s9, s26
	s_addc_u32 s9, s25, 0
	s_mul_i32 s7, s23, s7
	s_add_u32 s1, s1, s7
	s_addc_u32 s7, 0, s9
	s_mul_i32 s7, s20, s7
	s_mul_hi_u32 s9, s20, s1
	s_add_i32 s7, s9, s7
	s_mul_i32 s9, s21, s1
	s_add_i32 s7, s7, s9
	s_sub_i32 s9, s23, s7
	s_mul_i32 s1, s20, s1
	s_sub_u32 s1, s22, s1
	s_cselect_b64 s[24:25], -1, 0
	s_cmp_lg_u64 s[24:25], 0
	s_subb_u32 s9, s9, s21
	s_sub_u32 s22, s1, s20
	s_cselect_b64 s[26:27], -1, 0
	s_cmp_lg_u64 s[26:27], 0
	s_subb_u32 s30, s9, 0
	s_cmp_ge_u32 s30, s21
	s_cselect_b32 s31, -1, 0
	s_cmp_ge_u32 s22, s20
	s_cselect_b32 s33, -1, 0
	s_cmp_eq_u32 s30, s21
	s_cselect_b32 s31, s33, s31
	s_cmp_lg_u64 s[26:27], 0
	s_subb_u32 s9, s9, s21
	s_sub_u32 s33, s22, s20
	s_cselect_b64 s[26:27], -1, 0
	s_cmp_lg_u64 s[26:27], 0
	s_subb_u32 s9, s9, 0
	s_cmp_lg_u32 s31, 0
	s_cselect_b32 s22, s33, s22
	s_cselect_b32 s9, s9, s30
	s_cmp_lg_u64 s[24:25], 0
	s_subb_u32 s7, s23, s7
	s_cmp_ge_u32 s7, s21
	s_cselect_b32 s23, -1, 0
	s_cmp_ge_u32 s1, s20
	s_cselect_b32 s20, -1, 0
	s_cmp_eq_u32 s7, s21
	s_cselect_b32 s20, s20, s23
	s_cmp_lg_u32 s20, 0
	s_cselect_b32 s21, s9, s7
	s_cselect_b32 s20, s22, s1
	s_xor_b64 s[20:21], s[20:21], 0
	s_sub_u32 s30, s20, 0
	s_subb_u32 s31, s21, 0
	s_cbranch_execnz .LBB21_6
.LBB21_5:
	v_cvt_f32_u32_e32 v1, s0
	s_sub_i32 s1, 0, s0
	s_mov_b32 s31, 0
	v_rcp_iflag_f32_e32 v1, v1
	v_mul_f32_e32 v1, 0x4f7ffffe, v1
	v_cvt_u32_f32_e32 v1, v1
	v_readfirstlane_b32 s2, v1
	s_mul_i32 s1, s1, s2
	s_mul_hi_u32 s1, s2, s1
	s_add_i32 s2, s2, s1
	s_mul_hi_u32 s1, s8, s2
	s_mul_i32 s1, s1, s0
	s_sub_i32 s1, s8, s1
	s_sub_i32 s2, s1, s0
	s_cmp_ge_u32 s1, s0
	s_cselect_b32 s1, s2, s1
	s_sub_i32 s2, s1, s0
	s_cmp_ge_u32 s1, s0
	s_cselect_b32 s30, s2, s1
.LBB21_6:
	s_load_dwordx2 s[34:35], s[4:5], 0xa0
	s_waitcnt lgkmcnt(0)
	v_cmp_le_f32_e64 s[0:1], s19, 0
	s_and_b64 vcc, exec, s[0:1]
	v_mov_b32_e32 v2, 1.0
	s_cbranch_vccnz .LBB21_8
; %bb.7:
	s_load_dword s2, s[4:5], 0x28
	s_load_dwordx2 s[0:1], s[4:5], 0x98
	s_add_i32 s3, s10, 1
	s_waitcnt lgkmcnt(0)
	s_sub_i32 s7, s10, s2
	v_mov_b32_e32 v2, s0
	s_lshl_b32 s0, s7, 1
	s_or_b32 s7, s0, 1
	s_cmp_lt_u32 s10, s2
	s_cselect_b64 vcc, -1, 0
	v_mov_b32_e32 v1, s1
	s_and_b64 s[0:1], vcc, exec
	s_cselect_b32 s0, s3, s7
	v_cndmask_b32_e32 v1, v1, v2, vcc
	v_cvt_f32_i32_e32 v2, s0
	v_cmp_neq_f32_e32 vcc, 1.0, v1
	s_mov_b32 s0, 0x3f2aaaab
	s_movk_i32 s2, 0x204
	v_cndmask_b32_e32 v2, 1.0, v2, vcc
	v_cmp_neq_f32_e32 vcc, 0, v2
	v_cndmask_b32_e32 v1, 1.0, v1, vcc
	v_frexp_mant_f32_e64 v3, |v1|
	v_cmp_gt_f32_e32 vcc, s0, v3
	v_cndmask_b32_e64 v4, 1.0, 2.0, vcc
	v_mul_f32_e32 v3, v3, v4
	v_add_f32_e32 v4, 1.0, v3
	v_rcp_f32_e32 v5, v4
	v_add_f32_e32 v6, -1.0, v3
	v_add_f32_e32 v7, -1.0, v4
	v_sub_f32_e32 v3, v3, v7
	v_mul_f32_e32 v7, v6, v5
	v_mul_f32_e32 v8, v4, v7
	v_fma_f32 v4, v7, v4, -v8
	v_fmac_f32_e32 v4, v7, v3
	v_add_f32_e32 v3, v8, v4
	v_sub_f32_e32 v9, v6, v3
	v_sub_f32_e32 v8, v3, v8
	;; [unrolled: 1-line block ×5, first 2 shown]
	v_add_f32_e32 v3, v4, v3
	v_add_f32_e32 v3, v9, v3
	v_mul_f32_e32 v3, v5, v3
	v_add_f32_e32 v5, v7, v3
	v_sub_f32_e32 v4, v5, v7
	v_sub_f32_e32 v6, v3, v4
	v_mul_f32_e32 v3, v5, v5
	v_fma_f32 v4, v5, v5, -v3
	v_add_f32_e32 v7, v6, v6
	v_fmac_f32_e32 v4, v5, v7
	v_add_f32_e32 v7, v3, v4
	v_mov_b32_e32 v8, 0x3e91f4c4
	v_sub_f32_e32 v3, v7, v3
	v_fmac_f32_e32 v8, 0x3e76c4e1, v7
	v_mov_b32_e32 v9, 0x3ecccdef
	v_sub_f32_e32 v3, v4, v3
	v_mul_f32_e32 v4, v5, v7
	v_fmac_f32_e32 v9, v7, v8
	v_fma_f32 v8, v7, v5, -v4
	v_fmac_f32_e32 v8, v7, v6
	v_fmac_f32_e32 v8, v3, v5
	v_add_f32_e32 v10, v4, v8
	v_sub_f32_e32 v4, v10, v4
	v_sub_f32_e32 v8, v8, v4
	v_mul_f32_e32 v4, v7, v9
	v_fma_f32 v7, v7, v9, -v4
	v_fmac_f32_e32 v7, v3, v9
	v_add_f32_e32 v9, v4, v7
	v_sub_f32_e32 v3, v9, v4
	v_sub_f32_e32 v7, v7, v3
	v_cvt_f64_f32_e64 v[3:4], |v1|
	v_add_f32_e32 v11, 0x3f2aaaaa, v9
	v_add_f32_e32 v12, 0xbf2aaaaa, v11
	;; [unrolled: 1-line block ×3, first 2 shown]
	v_frexp_exp_i32_f64_e32 v3, v[3:4]
	v_sub_f32_e32 v9, v9, v12
	v_add_f32_e32 v4, v7, v9
	v_add_f32_e32 v7, v11, v4
	v_sub_f32_e32 v9, v11, v7
	v_add_f32_e32 v4, v4, v9
	v_mul_f32_e32 v9, v10, v7
	v_fma_f32 v11, v10, v7, -v9
	v_subbrev_co_u32_e32 v3, vcc, 0, v3, vcc
	v_cvt_f32_i32_e32 v3, v3
	v_fmac_f32_e32 v11, v10, v4
	s_mov_b32 s0, 0x3f317218
	v_fmac_f32_e32 v11, v8, v7
	v_mul_f32_e32 v4, 0x3f317218, v3
	v_fma_f32 v7, v3, s0, -v4
	v_fmac_f32_e32 v7, 0xb102e308, v3
	v_ldexp_f32 v3, v6, 1
	v_add_f32_e32 v6, v4, v7
	v_sub_f32_e32 v4, v6, v4
	v_ldexp_f32 v5, v5, 1
	v_sub_f32_e32 v4, v7, v4
	v_add_f32_e32 v7, v9, v11
	v_sub_f32_e32 v8, v7, v9
	v_add_f32_e32 v9, v5, v7
	v_sub_f32_e32 v8, v11, v8
	v_sub_f32_e32 v5, v9, v5
	;; [unrolled: 1-line block ×3, first 2 shown]
	v_add_f32_e32 v3, v3, v8
	v_add_f32_e32 v3, v3, v5
	;; [unrolled: 1-line block ×3, first 2 shown]
	v_sub_f32_e32 v7, v5, v9
	v_sub_f32_e32 v3, v3, v7
	v_add_f32_e32 v7, v6, v5
	v_sub_f32_e32 v8, v7, v6
	v_sub_f32_e32 v9, v7, v8
	;; [unrolled: 1-line block ×4, first 2 shown]
	v_add_f32_e32 v5, v5, v6
	v_add_f32_e32 v6, v4, v3
	v_sub_f32_e32 v8, v6, v4
	v_sub_f32_e32 v9, v6, v8
	;; [unrolled: 1-line block ×4, first 2 shown]
	v_add_f32_e32 v3, v3, v4
	v_add_f32_e32 v4, v6, v5
	;; [unrolled: 1-line block ×3, first 2 shown]
	v_sub_f32_e32 v6, v5, v7
	v_sub_f32_e32 v4, v4, v6
	v_add_f32_e32 v3, v3, v4
	v_add_f32_e32 v4, v5, v3
	v_sub_f32_e32 v5, v4, v5
	v_sub_f32_e32 v3, v3, v5
	v_mul_f32_e32 v5, v2, v4
	v_fma_f32 v4, v2, v4, -v5
	v_fmac_f32_e32 v4, v2, v3
	v_add_f32_e32 v3, v5, v4
	v_cmp_class_f32_e64 vcc, v5, s2
	v_sub_f32_e32 v6, v3, v5
	v_cndmask_b32_e32 v3, v3, v5, vcc
	s_mov_b32 s1, 0x42b17218
	v_mov_b32_e32 v5, 0x37000000
	v_cmp_eq_f32_e32 vcc, s1, v3
	v_cndmask_b32_e32 v5, 0, v5, vcc
	v_sub_f32_e32 v4, v4, v6
	v_sub_f32_e32 v6, v3, v5
	s_mov_b32 s3, 0x3fb8aa3b
	v_mul_f32_e32 v7, 0x3fb8aa3b, v6
	v_fma_f32 v8, v6, s3, -v7
	v_rndne_f32_e32 v9, v7
	v_fmac_f32_e32 v8, 0x32a5705f, v6
	v_sub_f32_e32 v7, v7, v9
	v_add_f32_e32 v7, v7, v8
	v_exp_f32_e32 v7, v7
	v_cvt_i32_f32_e32 v8, v9
	s_mov_b32 s0, 0x7f800000
	v_cmp_neq_f32_e64 vcc, |v3|, s0
	s_mov_b32 s0, 0xc2ce8ed0
	v_cndmask_b32_e32 v3, 0, v4, vcc
	v_ldexp_f32 v4, v7, v8
	v_cmp_ngt_f32_e32 vcc, s0, v6
	v_add_f32_e32 v3, v5, v3
	v_cndmask_b32_e32 v4, 0, v4, vcc
	v_mov_b32_e32 v5, 0x7f800000
	v_cmp_nlt_f32_e32 vcc, s1, v6
	v_cndmask_b32_e32 v4, v5, v4, vcc
	v_fma_f32 v3, v4, v3, v4
	v_cmp_class_f32_e64 vcc, v4, s2
	v_cndmask_b32_e32 v3, v3, v4, vcc
	v_trunc_f32_e32 v4, v2
	v_cmp_eq_f32_e32 vcc, v4, v2
	v_mul_f32_e32 v4, 0.5, v2
	v_trunc_f32_e32 v7, v4
	v_cmp_neq_f32_e64 s[0:1], v7, v4
	s_and_b64 s[0:1], vcc, s[0:1]
	v_cndmask_b32_e64 v4, 1.0, v1, s[0:1]
	s_brev_b32 s7, -2
	v_mov_b32_e32 v6, 0x7fc00000
	v_bfi_b32 v3, s7, v3, v4
	v_cndmask_b32_e32 v4, v6, v3, vcc
	v_cmp_gt_f32_e32 vcc, 0, v1
	v_cndmask_b32_e32 v3, v3, v4, vcc
	v_cmp_class_f32_e64 s[20:21], v1, s2
	v_cmp_eq_f32_e32 vcc, 0, v1
	v_cmp_gt_f32_e64 s[2:3], 0, v2
	s_xor_b64 s[2:3], s[2:3], vcc
	v_cndmask_b32_e64 v2, v5, 0, s[2:3]
	v_cndmask_b32_e64 v4, 0, v1, s[0:1]
	v_bfi_b32 v2, s7, v2, v4
	s_or_b64 vcc, vcc, s[20:21]
	v_cndmask_b32_e32 v2, v3, v2, vcc
	v_cmp_o_f32_e32 vcc, v1, v1
	v_cndmask_b32_e32 v2, v6, v2, vcc
.LBB21_8:
	s_load_dwordx8 s[20:27], s[4:5], 0x0
	s_waitcnt lgkmcnt(0)
	s_cmp_lg_u64 s[24:25], 0
	s_cselect_b64 s[0:1], -1, 0
	s_cmp_eq_u64 s[24:25], 0
	s_cbranch_scc1 .LBB21_12
; %bb.9:
	s_lshl_b64 s[2:3], s[10:11], 2
	s_add_u32 s2, s24, s2
	s_addc_u32 s3, s25, s3
	s_load_dword s7, s[2:3], 0x0
	s_branch .LBB21_13
.LBB21_10:
                                        ; implicit-def: $sgpr28_sgpr29
	s_branch .LBB21_2
.LBB21_11:
                                        ; implicit-def: $sgpr30_sgpr31
	s_branch .LBB21_5
.LBB21_12:
	s_mov_b32 s7, 0xff800000
.LBB21_13:
	s_mul_i32 s2, s35, s8
	s_add_i32 s2, s2, s10
	s_mul_i32 s2, s2, s34
	s_add_i32 s2, s2, s6
	s_ashr_i32 s3, s2, 31
	s_lshl_b64 s[4:5], s[2:3], 7
	s_add_u32 s4, s20, s4
	s_addc_u32 s5, s21, s5
	v_lshlrev_b32_e32 v1, 2, v0
	global_load_dword v4, v1, s[4:5]
	s_cmp_eq_u64 s[22:23], 0
	s_cselect_b64 s[4:5], -1, 0
	v_mov_b32_e32 v3, 0
	s_and_b64 vcc, exec, s[4:5]
	s_cbranch_vccnz .LBB21_15
; %bb.14:
	s_mul_i32 s8, s13, s6
	s_mul_hi_u32 s9, s12, s6
	s_add_i32 s9, s9, s8
	s_mul_i32 s6, s12, s6
	s_mul_i32 s8, s28, s15
	s_mul_hi_u32 s12, s28, s14
	s_add_i32 s8, s12, s8
	s_mul_i32 s12, s29, s14
	s_add_i32 s8, s8, s12
	s_mul_i32 s12, s28, s14
	s_add_u32 s6, s12, s6
	s_addc_u32 s9, s8, s9
	s_mul_i32 s8, s30, s17
	s_mul_hi_u32 s12, s30, s16
	s_add_i32 s8, s12, s8
	s_mul_i32 s12, s31, s16
	s_add_i32 s12, s8, s12
	s_mul_i32 s8, s30, s16
	s_add_u32 s8, s6, s8
	s_addc_u32 s9, s9, s12
	s_lshr_b64 s[8:9], s[8:9], 2
	s_and_b64 s[4:5], exec, s[4:5]
	s_cselect_b32 s5, 0, s9
	s_cselect_b32 s4, 0, s8
	s_lshl_b64 s[4:5], s[4:5], 2
	s_add_u32 s4, s22, s4
	s_addc_u32 s5, s23, s5
	global_load_dword v3, v1, s[4:5]
	s_waitcnt vmcnt(0)
	v_mul_f32_e32 v3, v2, v3
.LBB21_15:
	s_waitcnt vmcnt(0)
	v_fmac_f32_e32 v3, s18, v4
	v_mbcnt_lo_u32_b32 v4, -1, 0
	v_mbcnt_hi_u32_b32 v4, -1, v4
	v_and_b32_e32 v5, 0x60, v4
	v_add_u32_e32 v5, 32, v5
	v_xor_b32_e32 v6, 16, v4
	v_cmp_lt_i32_e32 vcc, v6, v5
	s_waitcnt lgkmcnt(0)
	v_max_f32_e64 v2, s7, s7
	v_cndmask_b32_e32 v6, v4, v6, vcc
	v_max_f32_e32 v2, v2, v3
	v_lshlrev_b32_e32 v6, 2, v6
	ds_bpermute_b32 v7, v6, v2
	s_mov_b32 s5, 0x3fb8aa3b
	s_mov_b32 s4, 0xc2ce8ed0
	;; [unrolled: 1-line block ×3, first 2 shown]
	v_lshl_add_u32 v0, v0, 2, 0
	s_waitcnt lgkmcnt(0)
	v_max_f32_e32 v7, v7, v7
	v_max_f32_e32 v2, v2, v7
	v_xor_b32_e32 v7, 8, v4
	v_cmp_lt_i32_e32 vcc, v7, v5
	v_cndmask_b32_e32 v7, v4, v7, vcc
	v_lshlrev_b32_e32 v7, 2, v7
	ds_bpermute_b32 v8, v7, v2
	s_lshl_b64 s[2:3], s[2:3], 5
	s_waitcnt lgkmcnt(0)
	v_max_f32_e32 v8, v8, v8
	v_max_f32_e32 v2, v2, v8
	v_xor_b32_e32 v8, 4, v4
	v_cmp_lt_i32_e32 vcc, v8, v5
	v_cndmask_b32_e32 v8, v4, v8, vcc
	v_lshlrev_b32_e32 v8, 2, v8
	ds_bpermute_b32 v9, v8, v2
	s_waitcnt lgkmcnt(0)
	v_max_f32_e32 v9, v9, v9
	v_max_f32_e32 v2, v2, v9
	v_xor_b32_e32 v9, 2, v4
	v_cmp_lt_i32_e32 vcc, v9, v5
	v_cndmask_b32_e32 v9, v4, v9, vcc
	v_lshlrev_b32_e32 v9, 2, v9
	ds_bpermute_b32 v10, v9, v2
	;; [unrolled: 8-line block ×3, first 2 shown]
	s_waitcnt lgkmcnt(0)
	v_max_f32_e32 v4, v4, v4
	v_max_f32_e32 v4, v2, v4
	v_sub_f32_e32 v2, v3, v4
	v_mul_f32_e32 v3, 0x3fb8aa3b, v2
	v_fma_f32 v10, v2, s5, -v3
	v_rndne_f32_e32 v11, v3
	v_fmac_f32_e32 v10, 0x32a5705f, v2
	v_sub_f32_e32 v3, v3, v11
	v_add_f32_e32 v3, v3, v10
	v_exp_f32_e32 v3, v3
	v_cvt_i32_f32_e32 v10, v11
	v_cmp_ngt_f32_e32 vcc, s4, v2
	v_ldexp_f32 v3, v3, v10
	v_cndmask_b32_e32 v10, 0, v3, vcc
	v_mov_b32_e32 v3, 0x7f800000
	v_cmp_nlt_f32_e32 vcc, s6, v2
	v_cndmask_b32_e32 v2, v3, v10, vcc
	ds_bpermute_b32 v6, v6, v2
	ds_write_b32 v0, v2 offset:128
	s_andn2_b64 vcc, exec, s[0:1]
	s_waitcnt lgkmcnt(1)
	v_add_f32_e32 v6, v2, v6
	ds_bpermute_b32 v7, v7, v6
	s_waitcnt lgkmcnt(0)
	v_add_f32_e32 v6, v6, v7
	ds_bpermute_b32 v7, v8, v6
	;; [unrolled: 3-line block ×4, first 2 shown]
	s_waitcnt lgkmcnt(0)
	v_add_f32_e32 v0, v6, v5
	s_cbranch_vccnz .LBB21_17
; %bb.16:
	s_lshl_b64 s[0:1], s[10:11], 2
	s_add_u32 s0, s24, s0
	s_addc_u32 s1, s25, s1
	s_load_dword s0, s[0:1], 0x0
	s_waitcnt lgkmcnt(0)
	v_sub_f32_e32 v4, s0, v4
	v_mul_f32_e32 v5, 0x3fb8aa3b, v4
	v_fma_f32 v6, v4, s5, -v5
	v_rndne_f32_e32 v7, v5
	v_fmac_f32_e32 v6, 0x32a5705f, v4
	v_sub_f32_e32 v5, v5, v7
	v_add_f32_e32 v5, v5, v6
	v_cvt_i32_f32_e32 v7, v7
	v_exp_f32_e32 v5, v5
	v_cmp_ngt_f32_e32 vcc, s4, v4
	v_ldexp_f32 v5, v5, v7
	v_cndmask_b32_e32 v5, 0, v5, vcc
	v_cmp_nlt_f32_e32 vcc, s6, v4
	v_cndmask_b32_e32 v3, v3, v5, vcc
	v_add_f32_e32 v0, v0, v3
.LBB21_17:
	v_div_scale_f32 v3, s[0:1], v0, v0, 1.0
	v_div_scale_f32 v4, vcc, 1.0, v0, 1.0
	s_lshl_b64 s[0:1], s[2:3], 2
	s_add_u32 s0, s26, s0
	s_addc_u32 s1, s27, s1
	v_rcp_f32_e32 v5, v3
	v_fma_f32 v6, -v3, v5, 1.0
	v_fmac_f32_e32 v5, v6, v5
	v_mul_f32_e32 v6, v4, v5
	v_fma_f32 v7, -v3, v6, v4
	v_fmac_f32_e32 v6, v7, v5
	v_fma_f32 v3, -v3, v6, v4
	v_div_fmas_f32 v3, v3, v5, v6
	v_div_fixup_f32 v0, v3, v0, 1.0
	v_mul_f32_e32 v0, v0, v2
	global_store_dword v1, v0, s[0:1]
	s_endpgm
	.section	.rodata,"a",@progbits
	.p2align	6, 0x0
	.amdhsa_kernel _ZL12soft_max_f32ILb1ELi32ELi32EfEvPKfPKT2_S1_Pf15soft_max_params
		.amdhsa_group_segment_fixed_size 0
		.amdhsa_private_segment_fixed_size 0
		.amdhsa_kernarg_size 416
		.amdhsa_user_sgpr_count 6
		.amdhsa_user_sgpr_private_segment_buffer 1
		.amdhsa_user_sgpr_dispatch_ptr 0
		.amdhsa_user_sgpr_queue_ptr 0
		.amdhsa_user_sgpr_kernarg_segment_ptr 1
		.amdhsa_user_sgpr_dispatch_id 0
		.amdhsa_user_sgpr_flat_scratch_init 0
		.amdhsa_user_sgpr_private_segment_size 0
		.amdhsa_uses_dynamic_stack 0
		.amdhsa_system_sgpr_private_segment_wavefront_offset 0
		.amdhsa_system_sgpr_workgroup_id_x 1
		.amdhsa_system_sgpr_workgroup_id_y 1
		.amdhsa_system_sgpr_workgroup_id_z 1
		.amdhsa_system_sgpr_workgroup_info 0
		.amdhsa_system_vgpr_workitem_id 0
		.amdhsa_next_free_vgpr 13
		.amdhsa_next_free_sgpr 36
		.amdhsa_reserve_vcc 1
		.amdhsa_reserve_flat_scratch 0
		.amdhsa_float_round_mode_32 0
		.amdhsa_float_round_mode_16_64 0
		.amdhsa_float_denorm_mode_32 3
		.amdhsa_float_denorm_mode_16_64 3
		.amdhsa_dx10_clamp 1
		.amdhsa_ieee_mode 1
		.amdhsa_fp16_overflow 0
		.amdhsa_exception_fp_ieee_invalid_op 0
		.amdhsa_exception_fp_denorm_src 0
		.amdhsa_exception_fp_ieee_div_zero 0
		.amdhsa_exception_fp_ieee_overflow 0
		.amdhsa_exception_fp_ieee_underflow 0
		.amdhsa_exception_fp_ieee_inexact 0
		.amdhsa_exception_int_div_zero 0
	.end_amdhsa_kernel
	.section	.text._ZL12soft_max_f32ILb1ELi32ELi32EfEvPKfPKT2_S1_Pf15soft_max_params,"axG",@progbits,_ZL12soft_max_f32ILb1ELi32ELi32EfEvPKfPKT2_S1_Pf15soft_max_params,comdat
.Lfunc_end21:
	.size	_ZL12soft_max_f32ILb1ELi32ELi32EfEvPKfPKT2_S1_Pf15soft_max_params, .Lfunc_end21-_ZL12soft_max_f32ILb1ELi32ELi32EfEvPKfPKT2_S1_Pf15soft_max_params
                                        ; -- End function
	.set _ZL12soft_max_f32ILb1ELi32ELi32EfEvPKfPKT2_S1_Pf15soft_max_params.num_vgpr, 13
	.set _ZL12soft_max_f32ILb1ELi32ELi32EfEvPKfPKT2_S1_Pf15soft_max_params.num_agpr, 0
	.set _ZL12soft_max_f32ILb1ELi32ELi32EfEvPKfPKT2_S1_Pf15soft_max_params.numbered_sgpr, 36
	.set _ZL12soft_max_f32ILb1ELi32ELi32EfEvPKfPKT2_S1_Pf15soft_max_params.num_named_barrier, 0
	.set _ZL12soft_max_f32ILb1ELi32ELi32EfEvPKfPKT2_S1_Pf15soft_max_params.private_seg_size, 0
	.set _ZL12soft_max_f32ILb1ELi32ELi32EfEvPKfPKT2_S1_Pf15soft_max_params.uses_vcc, 1
	.set _ZL12soft_max_f32ILb1ELi32ELi32EfEvPKfPKT2_S1_Pf15soft_max_params.uses_flat_scratch, 0
	.set _ZL12soft_max_f32ILb1ELi32ELi32EfEvPKfPKT2_S1_Pf15soft_max_params.has_dyn_sized_stack, 0
	.set _ZL12soft_max_f32ILb1ELi32ELi32EfEvPKfPKT2_S1_Pf15soft_max_params.has_recursion, 0
	.set _ZL12soft_max_f32ILb1ELi32ELi32EfEvPKfPKT2_S1_Pf15soft_max_params.has_indirect_call, 0
	.section	.AMDGPU.csdata,"",@progbits
; Kernel info:
; codeLenInByte = 3172
; TotalNumSgprs: 40
; NumVgprs: 13
; ScratchSize: 0
; MemoryBound: 0
; FloatMode: 240
; IeeeMode: 1
; LDSByteSize: 0 bytes/workgroup (compile time only)
; SGPRBlocks: 4
; VGPRBlocks: 3
; NumSGPRsForWavesPerEU: 40
; NumVGPRsForWavesPerEU: 13
; Occupancy: 10
; WaveLimiterHint : 1
; COMPUTE_PGM_RSRC2:SCRATCH_EN: 0
; COMPUTE_PGM_RSRC2:USER_SGPR: 6
; COMPUTE_PGM_RSRC2:TRAP_HANDLER: 0
; COMPUTE_PGM_RSRC2:TGID_X_EN: 1
; COMPUTE_PGM_RSRC2:TGID_Y_EN: 1
; COMPUTE_PGM_RSRC2:TGID_Z_EN: 1
; COMPUTE_PGM_RSRC2:TIDIG_COMP_CNT: 0
	.section	.text._ZL12soft_max_f32ILb1ELi0ELi0EfEvPKfPKT2_S1_Pf15soft_max_params,"axG",@progbits,_ZL12soft_max_f32ILb1ELi0ELi0EfEvPKfPKT2_S1_Pf15soft_max_params,comdat
	.globl	_ZL12soft_max_f32ILb1ELi0ELi0EfEvPKfPKT2_S1_Pf15soft_max_params ; -- Begin function _ZL12soft_max_f32ILb1ELi0ELi0EfEvPKfPKT2_S1_Pf15soft_max_params
	.p2align	8
	.type	_ZL12soft_max_f32ILb1ELi0ELi0EfEvPKfPKT2_S1_Pf15soft_max_params,@function
_ZL12soft_max_f32ILb1ELi0ELi0EfEvPKfPKT2_S1_Pf15soft_max_params: ; @_ZL12soft_max_f32ILb1ELi0ELi0EfEvPKfPKT2_S1_Pf15soft_max_params
; %bb.0:
	s_add_u32 flat_scratch_lo, s6, s11
	s_addc_u32 flat_scratch_hi, s7, 0
	s_load_dwordx8 s[16:23], s[4:5], 0x68
	s_load_dwordx2 s[6:7], s[4:5], 0x88
	s_add_u32 s0, s0, s11
	s_addc_u32 s1, s1, 0
	s_mov_b32 s27, 0
	s_add_u32 s14, s4, 0xa0
	s_addc_u32 s15, s5, 0
	s_mov_b32 s12, s27
	s_waitcnt lgkmcnt(0)
	s_mov_b32 s13, s23
	s_mov_b32 s26, s9
	s_cmp_lg_u64 s[12:13], 0
	s_mov_b32 s32, 0
	s_cbranch_scc0 .LBB22_10
; %bb.1:
	s_ashr_i32 s12, s23, 31
	s_add_u32 s24, s22, s12
	s_mov_b32 s13, s12
	s_addc_u32 s25, s23, s12
	s_xor_b64 s[24:25], s[24:25], s[12:13]
	v_cvt_f32_u32_e32 v1, s24
	v_cvt_f32_u32_e32 v2, s25
	s_sub_u32 s9, 0, s24
	s_subb_u32 s11, 0, s25
	v_madmk_f32 v1, v2, 0x4f800000, v1
	v_rcp_f32_e32 v1, v1
	v_mul_f32_e32 v1, 0x5f7ffffc, v1
	v_mul_f32_e32 v2, 0x2f800000, v1
	v_trunc_f32_e32 v2, v2
	v_madmk_f32 v1, v2, 0xcf800000, v1
	v_cvt_u32_f32_e32 v2, v2
	v_cvt_u32_f32_e32 v1, v1
	v_readfirstlane_b32 s23, v2
	v_readfirstlane_b32 s28, v1
	s_mul_i32 s29, s9, s23
	s_mul_hi_u32 s31, s9, s28
	s_mul_i32 s30, s11, s28
	s_add_i32 s29, s31, s29
	s_add_i32 s29, s29, s30
	s_mul_i32 s33, s9, s28
	s_mul_i32 s31, s28, s29
	s_mul_hi_u32 s34, s28, s33
	s_mul_hi_u32 s30, s28, s29
	s_add_u32 s31, s34, s31
	s_addc_u32 s30, 0, s30
	s_mul_hi_u32 s35, s23, s33
	s_mul_i32 s33, s23, s33
	s_add_u32 s31, s31, s33
	s_mul_hi_u32 s34, s23, s29
	s_addc_u32 s30, s30, s35
	s_addc_u32 s31, s34, 0
	s_mul_i32 s29, s23, s29
	s_add_u32 s29, s30, s29
	s_addc_u32 s30, 0, s31
	s_add_u32 s31, s28, s29
	s_cselect_b64 s[28:29], -1, 0
	s_cmp_lg_u64 s[28:29], 0
	s_addc_u32 s23, s23, s30
	s_mul_i32 s28, s9, s23
	s_mul_hi_u32 s29, s9, s31
	s_add_i32 s28, s29, s28
	s_mul_i32 s11, s11, s31
	s_add_i32 s28, s28, s11
	s_mul_i32 s9, s9, s31
	s_mul_hi_u32 s29, s23, s9
	s_mul_i32 s30, s23, s9
	s_mul_i32 s34, s31, s28
	s_mul_hi_u32 s9, s31, s9
	s_mul_hi_u32 s33, s31, s28
	s_add_u32 s9, s9, s34
	s_addc_u32 s33, 0, s33
	s_add_u32 s9, s9, s30
	s_mul_hi_u32 s11, s23, s28
	s_addc_u32 s9, s33, s29
	s_addc_u32 s11, s11, 0
	s_mul_i32 s28, s23, s28
	s_add_u32 s9, s9, s28
	s_addc_u32 s11, 0, s11
	s_add_u32 s9, s31, s9
	s_cselect_b64 s[28:29], -1, 0
	s_cmp_lg_u64 s[28:29], 0
	s_addc_u32 s11, s23, s11
	s_add_u32 s28, s26, 0
	s_addc_u32 s29, 0, 0
	s_xor_b64 s[28:29], s[28:29], 0
	s_mul_i32 s30, s28, s11
	s_mul_hi_u32 s31, s28, s9
	s_mul_hi_u32 s23, s28, s11
	s_add_u32 s30, s31, s30
	s_addc_u32 s23, 0, s23
	s_mul_hi_u32 s33, s29, s9
	s_mul_i32 s9, s29, s9
	s_add_u32 s9, s30, s9
	s_mul_hi_u32 s31, s29, s11
	s_addc_u32 s9, s23, s33
	s_addc_u32 s23, s31, 0
	s_mul_i32 s11, s29, s11
	s_add_u32 s9, s9, s11
	s_addc_u32 s11, 0, s23
	s_mul_i32 s11, s24, s11
	s_mul_hi_u32 s23, s24, s9
	s_add_i32 s11, s23, s11
	s_mul_i32 s23, s25, s9
	s_add_i32 s11, s11, s23
	s_sub_i32 s23, s29, s11
	s_mul_i32 s9, s24, s9
	s_sub_u32 s9, s28, s9
	s_cselect_b64 s[30:31], -1, 0
	s_cmp_lg_u64 s[30:31], 0
	s_subb_u32 s23, s23, s25
	s_sub_u32 s28, s9, s24
	s_cselect_b64 s[34:35], -1, 0
	s_cmp_lg_u64 s[34:35], 0
	s_subb_u32 s33, s23, 0
	s_cmp_ge_u32 s33, s25
	s_cselect_b32 s36, -1, 0
	s_cmp_ge_u32 s28, s24
	s_cselect_b32 s37, -1, 0
	s_cmp_eq_u32 s33, s25
	s_cselect_b32 s36, s37, s36
	s_cmp_lg_u64 s[34:35], 0
	s_subb_u32 s23, s23, s25
	s_sub_u32 s37, s28, s24
	s_cselect_b64 s[34:35], -1, 0
	s_cmp_lg_u64 s[34:35], 0
	s_subb_u32 s23, s23, 0
	s_cmp_lg_u32 s36, 0
	s_cselect_b32 s28, s37, s28
	s_cselect_b32 s23, s23, s33
	s_cmp_lg_u64 s[30:31], 0
	s_subb_u32 s11, s29, s11
	s_cmp_ge_u32 s11, s25
	s_cselect_b32 s29, -1, 0
	s_cmp_ge_u32 s9, s24
	s_cselect_b32 s24, -1, 0
	s_cmp_eq_u32 s11, s25
	s_cselect_b32 s24, s24, s29
	s_cmp_lg_u32 s24, 0
	s_cselect_b32 s25, s23, s11
	s_cselect_b32 s24, s28, s9
	s_xor_b64 s[24:25], s[24:25], 0
	s_sub_u32 s24, s24, 0
	s_subb_u32 s25, s25, 0
	s_cbranch_execnz .LBB22_3
.LBB22_2:
	v_cvt_f32_u32_e32 v1, s22
	s_sub_i32 s9, 0, s22
	s_mov_b32 s25, 0
	v_rcp_iflag_f32_e32 v1, v1
	v_mul_f32_e32 v1, 0x4f7ffffe, v1
	v_cvt_u32_f32_e32 v1, v1
	v_readfirstlane_b32 s11, v1
	s_mul_i32 s9, s9, s11
	s_mul_hi_u32 s9, s11, s9
	s_add_i32 s11, s11, s9
	s_mul_hi_u32 s9, s26, s11
	s_mul_i32 s9, s9, s22
	s_sub_i32 s9, s26, s9
	s_sub_i32 s11, s9, s22
	s_cmp_ge_u32 s9, s22
	s_cselect_b32 s9, s11, s9
	s_sub_i32 s11, s9, s22
	s_cmp_ge_u32 s9, s22
	s_cselect_b32 s24, s11, s9
.LBB22_3:
	s_load_dwordx2 s[22:23], s[4:5], 0x90
	s_mov_b32 s12, 0
	s_mov_b32 s13, s7
	s_cmp_lg_u64 s[12:13], 0
	s_cbranch_scc0 .LBB22_11
; %bb.4:
	s_ashr_i32 s12, s7, 31
	s_add_u32 s28, s6, s12
	s_mov_b32 s13, s12
	s_addc_u32 s29, s7, s12
	s_xor_b64 s[28:29], s[28:29], s[12:13]
	v_cvt_f32_u32_e32 v1, s28
	v_cvt_f32_u32_e32 v2, s29
	s_sub_u32 s7, 0, s28
	s_subb_u32 s9, 0, s29
	v_madmk_f32 v1, v2, 0x4f800000, v1
	v_rcp_f32_e32 v1, v1
	v_mul_f32_e32 v1, 0x5f7ffffc, v1
	v_mul_f32_e32 v2, 0x2f800000, v1
	v_trunc_f32_e32 v2, v2
	v_madmk_f32 v1, v2, 0xcf800000, v1
	v_cvt_u32_f32_e32 v2, v2
	v_cvt_u32_f32_e32 v1, v1
	v_readfirstlane_b32 s11, v2
	v_readfirstlane_b32 s30, v1
	s_mul_i32 s31, s7, s11
	s_mul_hi_u32 s34, s7, s30
	s_mul_i32 s33, s9, s30
	s_add_i32 s31, s34, s31
	s_add_i32 s31, s31, s33
	s_mul_i32 s35, s7, s30
	s_mul_i32 s34, s30, s31
	s_mul_hi_u32 s36, s30, s35
	s_mul_hi_u32 s33, s30, s31
	s_add_u32 s34, s36, s34
	s_addc_u32 s33, 0, s33
	s_mul_hi_u32 s37, s11, s35
	s_mul_i32 s35, s11, s35
	s_add_u32 s34, s34, s35
	s_mul_hi_u32 s36, s11, s31
	s_addc_u32 s33, s33, s37
	s_addc_u32 s34, s36, 0
	s_mul_i32 s31, s11, s31
	s_add_u32 s31, s33, s31
	s_addc_u32 s33, 0, s34
	s_add_u32 s34, s30, s31
	s_cselect_b64 s[30:31], -1, 0
	s_cmp_lg_u64 s[30:31], 0
	s_addc_u32 s11, s11, s33
	s_mul_i32 s30, s7, s11
	s_mul_hi_u32 s31, s7, s34
	s_add_i32 s30, s31, s30
	s_mul_i32 s9, s9, s34
	s_add_i32 s30, s30, s9
	s_mul_i32 s7, s7, s34
	s_mul_hi_u32 s31, s11, s7
	s_mul_i32 s33, s11, s7
	s_mul_i32 s36, s34, s30
	s_mul_hi_u32 s7, s34, s7
	s_mul_hi_u32 s35, s34, s30
	s_add_u32 s7, s7, s36
	s_addc_u32 s35, 0, s35
	s_add_u32 s7, s7, s33
	s_mul_hi_u32 s9, s11, s30
	s_addc_u32 s7, s35, s31
	s_addc_u32 s9, s9, 0
	s_mul_i32 s30, s11, s30
	s_add_u32 s7, s7, s30
	s_addc_u32 s9, 0, s9
	s_add_u32 s7, s34, s7
	s_cselect_b64 s[30:31], -1, 0
	s_cmp_lg_u64 s[30:31], 0
	s_addc_u32 s9, s11, s9
	s_add_u32 s30, s10, 0
	s_addc_u32 s31, 0, 0
	s_xor_b64 s[30:31], s[30:31], 0
	s_mul_i32 s33, s30, s9
	s_mul_hi_u32 s34, s30, s7
	s_mul_hi_u32 s11, s30, s9
	s_add_u32 s33, s34, s33
	s_addc_u32 s11, 0, s11
	s_mul_hi_u32 s35, s31, s7
	s_mul_i32 s7, s31, s7
	s_add_u32 s7, s33, s7
	s_mul_hi_u32 s34, s31, s9
	s_addc_u32 s7, s11, s35
	s_addc_u32 s11, s34, 0
	s_mul_i32 s9, s31, s9
	s_add_u32 s7, s7, s9
	s_addc_u32 s9, 0, s11
	s_mul_i32 s9, s28, s9
	s_mul_hi_u32 s11, s28, s7
	s_add_i32 s9, s11, s9
	s_mul_i32 s11, s29, s7
	s_add_i32 s9, s9, s11
	s_sub_i32 s11, s31, s9
	s_mul_i32 s7, s28, s7
	s_sub_u32 s7, s30, s7
	s_cselect_b64 s[34:35], -1, 0
	s_cmp_lg_u64 s[34:35], 0
	s_subb_u32 s11, s11, s29
	s_sub_u32 s30, s7, s28
	s_cselect_b64 s[36:37], -1, 0
	s_cmp_lg_u64 s[36:37], 0
	s_subb_u32 s33, s11, 0
	s_cmp_ge_u32 s33, s29
	s_cselect_b32 s38, -1, 0
	s_cmp_ge_u32 s30, s28
	s_cselect_b32 s39, -1, 0
	s_cmp_eq_u32 s33, s29
	s_cselect_b32 s38, s39, s38
	s_cmp_lg_u64 s[36:37], 0
	s_subb_u32 s11, s11, s29
	s_sub_u32 s39, s30, s28
	s_cselect_b64 s[36:37], -1, 0
	s_cmp_lg_u64 s[36:37], 0
	s_subb_u32 s11, s11, 0
	s_cmp_lg_u32 s38, 0
	s_cselect_b32 s30, s39, s30
	s_cselect_b32 s11, s11, s33
	s_cmp_lg_u64 s[34:35], 0
	s_subb_u32 s9, s31, s9
	s_cmp_ge_u32 s9, s29
	s_cselect_b32 s31, -1, 0
	s_cmp_ge_u32 s7, s28
	s_cselect_b32 s28, -1, 0
	s_cmp_eq_u32 s9, s29
	s_cselect_b32 s28, s28, s31
	s_cmp_lg_u32 s28, 0
	s_cselect_b32 s29, s11, s9
	s_cselect_b32 s28, s30, s7
	s_xor_b64 s[28:29], s[28:29], 0
	s_sub_u32 s30, s28, 0
	s_subb_u32 s31, s29, 0
	s_cbranch_execnz .LBB22_6
.LBB22_5:
	v_cvt_f32_u32_e32 v1, s6
	s_sub_i32 s7, 0, s6
	s_mov_b32 s31, 0
	v_rcp_iflag_f32_e32 v1, v1
	v_mul_f32_e32 v1, 0x4f7ffffe, v1
	v_cvt_u32_f32_e32 v1, v1
	v_readfirstlane_b32 s9, v1
	s_mul_i32 s7, s7, s9
	s_mul_hi_u32 s7, s9, s7
	s_add_i32 s9, s9, s7
	s_mul_hi_u32 s7, s10, s9
	s_mul_i32 s7, s7, s6
	s_sub_i32 s7, s10, s7
	s_sub_i32 s9, s7, s6
	s_cmp_ge_u32 s7, s6
	s_cselect_b32 s7, s9, s7
	s_sub_i32 s9, s7, s6
	s_cmp_ge_u32 s7, s6
	s_cselect_b32 s30, s9, s7
.LBB22_6:
	s_load_dwordx2 s[28:29], s[4:5], 0x30
	s_load_dwordx2 s[34:35], s[4:5], 0xa0
	s_waitcnt lgkmcnt(0)
	v_cmp_le_f32_e64 s[6:7], s23, 0
	s_and_b64 vcc, exec, s[6:7]
	v_mov_b32_e32 v1, 1.0
	s_cbranch_vccnz .LBB22_8
; %bb.7:
	s_load_dword s9, s[4:5], 0x28
	s_load_dwordx2 s[6:7], s[4:5], 0x98
	s_add_i32 s11, s26, 1
	s_waitcnt lgkmcnt(0)
	s_sub_i32 s12, s26, s9
	v_mov_b32_e32 v2, s6
	s_lshl_b32 s6, s12, 1
	s_or_b32 s12, s6, 1
	s_cmp_lt_u32 s26, s9
	s_cselect_b64 vcc, -1, 0
	v_mov_b32_e32 v1, s7
	s_and_b64 s[6:7], vcc, exec
	s_cselect_b32 s6, s11, s12
	v_cndmask_b32_e32 v1, v1, v2, vcc
	v_cvt_f32_i32_e32 v2, s6
	v_cmp_neq_f32_e32 vcc, 1.0, v1
	s_mov_b32 s6, 0x3f2aaaab
	s_movk_i32 s9, 0x204
	v_cndmask_b32_e32 v2, 1.0, v2, vcc
	v_cmp_neq_f32_e32 vcc, 0, v2
	v_cndmask_b32_e32 v1, 1.0, v1, vcc
	v_frexp_mant_f32_e64 v3, |v1|
	v_cmp_gt_f32_e32 vcc, s6, v3
	v_cndmask_b32_e64 v4, 1.0, 2.0, vcc
	v_mul_f32_e32 v3, v3, v4
	v_add_f32_e32 v4, 1.0, v3
	v_rcp_f32_e32 v5, v4
	v_add_f32_e32 v6, -1.0, v3
	v_add_f32_e32 v7, -1.0, v4
	v_sub_f32_e32 v3, v3, v7
	v_mul_f32_e32 v7, v6, v5
	v_mul_f32_e32 v8, v4, v7
	v_fma_f32 v4, v7, v4, -v8
	v_fmac_f32_e32 v4, v7, v3
	v_add_f32_e32 v3, v8, v4
	v_sub_f32_e32 v9, v6, v3
	v_sub_f32_e32 v8, v3, v8
	;; [unrolled: 1-line block ×5, first 2 shown]
	v_add_f32_e32 v3, v4, v3
	v_add_f32_e32 v3, v9, v3
	v_mul_f32_e32 v3, v5, v3
	v_add_f32_e32 v5, v7, v3
	v_sub_f32_e32 v4, v5, v7
	v_sub_f32_e32 v6, v3, v4
	v_mul_f32_e32 v3, v5, v5
	v_fma_f32 v4, v5, v5, -v3
	v_add_f32_e32 v7, v6, v6
	v_fmac_f32_e32 v4, v5, v7
	v_add_f32_e32 v7, v3, v4
	v_mov_b32_e32 v8, 0x3e91f4c4
	v_sub_f32_e32 v3, v7, v3
	v_fmac_f32_e32 v8, 0x3e76c4e1, v7
	v_mov_b32_e32 v9, 0x3ecccdef
	v_sub_f32_e32 v3, v4, v3
	v_mul_f32_e32 v4, v5, v7
	v_fmac_f32_e32 v9, v7, v8
	v_fma_f32 v8, v7, v5, -v4
	v_fmac_f32_e32 v8, v7, v6
	v_fmac_f32_e32 v8, v3, v5
	v_add_f32_e32 v10, v4, v8
	v_sub_f32_e32 v4, v10, v4
	v_sub_f32_e32 v8, v8, v4
	v_mul_f32_e32 v4, v7, v9
	v_fma_f32 v7, v7, v9, -v4
	v_fmac_f32_e32 v7, v3, v9
	v_add_f32_e32 v9, v4, v7
	v_sub_f32_e32 v3, v9, v4
	v_sub_f32_e32 v7, v7, v3
	v_cvt_f64_f32_e64 v[3:4], |v1|
	v_add_f32_e32 v11, 0x3f2aaaaa, v9
	v_add_f32_e32 v12, 0xbf2aaaaa, v11
	;; [unrolled: 1-line block ×3, first 2 shown]
	v_frexp_exp_i32_f64_e32 v3, v[3:4]
	v_sub_f32_e32 v9, v9, v12
	v_add_f32_e32 v4, v7, v9
	v_add_f32_e32 v7, v11, v4
	v_sub_f32_e32 v9, v11, v7
	v_add_f32_e32 v4, v4, v9
	v_mul_f32_e32 v9, v10, v7
	v_fma_f32 v11, v10, v7, -v9
	v_subbrev_co_u32_e32 v3, vcc, 0, v3, vcc
	v_cvt_f32_i32_e32 v3, v3
	v_fmac_f32_e32 v11, v10, v4
	s_mov_b32 s6, 0x3f317218
	v_fmac_f32_e32 v11, v8, v7
	v_mul_f32_e32 v4, 0x3f317218, v3
	v_fma_f32 v7, v3, s6, -v4
	v_fmac_f32_e32 v7, 0xb102e308, v3
	v_ldexp_f32 v3, v6, 1
	v_add_f32_e32 v6, v4, v7
	v_sub_f32_e32 v4, v6, v4
	v_ldexp_f32 v5, v5, 1
	v_sub_f32_e32 v4, v7, v4
	v_add_f32_e32 v7, v9, v11
	v_sub_f32_e32 v8, v7, v9
	v_add_f32_e32 v9, v5, v7
	v_sub_f32_e32 v8, v11, v8
	v_sub_f32_e32 v5, v9, v5
	;; [unrolled: 1-line block ×3, first 2 shown]
	v_add_f32_e32 v3, v3, v8
	v_add_f32_e32 v3, v3, v5
	;; [unrolled: 1-line block ×3, first 2 shown]
	v_sub_f32_e32 v7, v5, v9
	v_sub_f32_e32 v3, v3, v7
	v_add_f32_e32 v7, v6, v5
	v_sub_f32_e32 v8, v7, v6
	v_sub_f32_e32 v9, v7, v8
	;; [unrolled: 1-line block ×4, first 2 shown]
	v_add_f32_e32 v5, v5, v6
	v_add_f32_e32 v6, v4, v3
	v_sub_f32_e32 v8, v6, v4
	v_sub_f32_e32 v9, v6, v8
	;; [unrolled: 1-line block ×4, first 2 shown]
	v_add_f32_e32 v3, v3, v4
	v_add_f32_e32 v4, v6, v5
	v_add_f32_e32 v5, v7, v4
	v_sub_f32_e32 v6, v5, v7
	v_sub_f32_e32 v4, v4, v6
	v_add_f32_e32 v3, v3, v4
	v_add_f32_e32 v4, v5, v3
	v_sub_f32_e32 v5, v4, v5
	v_sub_f32_e32 v3, v3, v5
	v_mul_f32_e32 v5, v2, v4
	v_fma_f32 v4, v2, v4, -v5
	v_fmac_f32_e32 v4, v2, v3
	v_add_f32_e32 v3, v5, v4
	v_cmp_class_f32_e64 vcc, v5, s9
	v_sub_f32_e32 v6, v3, v5
	v_cndmask_b32_e32 v3, v3, v5, vcc
	s_mov_b32 s7, 0x42b17218
	v_mov_b32_e32 v5, 0x37000000
	v_cmp_eq_f32_e32 vcc, s7, v3
	v_cndmask_b32_e32 v5, 0, v5, vcc
	v_sub_f32_e32 v4, v4, v6
	v_sub_f32_e32 v6, v3, v5
	s_mov_b32 s11, 0x3fb8aa3b
	v_mul_f32_e32 v7, 0x3fb8aa3b, v6
	v_fma_f32 v8, v6, s11, -v7
	v_rndne_f32_e32 v9, v7
	v_fmac_f32_e32 v8, 0x32a5705f, v6
	v_sub_f32_e32 v7, v7, v9
	v_add_f32_e32 v7, v7, v8
	v_exp_f32_e32 v7, v7
	v_cvt_i32_f32_e32 v8, v9
	s_mov_b32 s6, 0x7f800000
	v_cmp_neq_f32_e64 vcc, |v3|, s6
	s_mov_b32 s6, 0xc2ce8ed0
	v_cndmask_b32_e32 v3, 0, v4, vcc
	v_ldexp_f32 v4, v7, v8
	v_cmp_ngt_f32_e32 vcc, s6, v6
	v_add_f32_e32 v3, v5, v3
	v_cndmask_b32_e32 v4, 0, v4, vcc
	v_mov_b32_e32 v5, 0x7f800000
	v_cmp_nlt_f32_e32 vcc, s7, v6
	v_cndmask_b32_e32 v4, v5, v4, vcc
	v_fma_f32 v3, v4, v3, v4
	v_cmp_class_f32_e64 vcc, v4, s9
	v_cndmask_b32_e32 v3, v3, v4, vcc
	v_trunc_f32_e32 v4, v2
	v_cmp_eq_f32_e32 vcc, v4, v2
	v_mul_f32_e32 v4, 0.5, v2
	v_trunc_f32_e32 v7, v4
	v_cmp_neq_f32_e64 s[6:7], v7, v4
	s_and_b64 s[6:7], vcc, s[6:7]
	v_cndmask_b32_e64 v4, 1.0, v1, s[6:7]
	s_brev_b32 s11, -2
	v_mov_b32_e32 v6, 0x7fc00000
	v_bfi_b32 v3, s11, v3, v4
	v_cndmask_b32_e32 v4, v6, v3, vcc
	v_cmp_gt_f32_e32 vcc, 0, v1
	v_cndmask_b32_e32 v3, v3, v4, vcc
	v_cmp_eq_f32_e32 vcc, 0, v1
	v_cmp_gt_f32_e64 s[12:13], 0, v2
	s_xor_b64 s[12:13], s[12:13], vcc
	v_cmp_class_f32_e64 s[36:37], v1, s9
	v_cndmask_b32_e64 v2, v5, 0, s[12:13]
	v_cndmask_b32_e64 v4, 0, v1, s[6:7]
	v_bfi_b32 v2, s11, v2, v4
	s_or_b64 vcc, vcc, s[36:37]
	v_cndmask_b32_e32 v2, v3, v2, vcc
	v_cmp_o_f32_e32 vcc, v1, v1
	v_cndmask_b32_e32 v1, v6, v2, vcc
.LBB22_8:
	s_load_dwordx8 s[36:43], s[4:5], 0x0
	s_load_dword s7, s[14:15], 0xc
	s_waitcnt lgkmcnt(0)
	s_cmp_lg_u64 s[40:41], 0
	s_cselect_b64 s[46:47], -1, 0
	s_cmp_eq_u64 s[40:41], 0
	s_cbranch_scc1 .LBB22_12
; %bb.9:
	s_lshl_b64 s[12:13], s[26:27], 2
	s_add_u32 s12, s40, s12
	s_addc_u32 s13, s41, s13
	s_load_dword s6, s[12:13], 0x0
	s_branch .LBB22_13
.LBB22_10:
                                        ; implicit-def: $sgpr24_sgpr25
	s_branch .LBB22_2
.LBB22_11:
                                        ; implicit-def: $sgpr30_sgpr31
	s_branch .LBB22_5
.LBB22_12:
	s_mov_b32 s6, 0xff800000
.LBB22_13:
	s_mul_i32 s9, s35, s10
	s_add_i32 s9, s9, s26
	s_mul_i32 s52, s9, s34
	s_add_i32 s52, s52, s8
	s_bfe_i64 s[34:35], s[28:29], 0x200000
	s_and_b32 s29, 0xffff, s7
	s_cmp_gt_i32 s28, 0
	s_mov_b32 s14, 0
	s_cselect_b64 s[44:45], -1, 0
	s_cmp_lt_i32 s28, 1
	s_waitcnt lgkmcnt(0)
	v_mov_b32_e32 v2, s6
	s_cbranch_scc1 .LBB22_21
; %bb.14:
	s_mul_i32 s7, s17, s8
	s_mul_hi_u32 s9, s16, s8
	s_add_i32 s9, s9, s7
	s_mul_i32 s7, s16, s8
	s_mul_i32 s8, s24, s19
	s_mul_hi_u32 s10, s24, s18
	s_add_i32 s8, s10, s8
	s_mul_i32 s10, s25, s18
	s_add_i32 s8, s8, s10
	s_mul_i32 s10, s24, s18
	s_add_u32 s7, s10, s7
	s_addc_u32 s9, s8, s9
	s_mul_i32 s8, s30, s21
	s_mul_hi_u32 s10, s30, s20
	s_add_i32 s8, s10, s8
	s_mul_i32 s10, s31, s20
	s_add_i32 s10, s8, s10
	s_mul_i32 s8, s30, s20
	s_add_u32 s8, s7, s8
	s_addc_u32 s9, s9, s10
	s_lshr_b64 s[8:9], s[8:9], 2
	s_cmp_lg_u64 s[38:39], 0
	s_cselect_b64 s[12:13], -1, 0
	v_cndmask_b32_e64 v6, 0, 1, s[12:13]
	s_and_b64 s[12:13], s[12:13], exec
	s_cselect_b32 s9, s9, 0
	s_cselect_b32 s8, s8, 0
	s_lshl_b64 s[8:9], s[8:9], 2
	s_add_u32 s15, s38, s8
	s_addc_u32 s16, s39, s9
	s_mul_hi_i32 s9, s52, s34
	s_mul_i32 s8, s52, s34
	v_lshlrev_b32_e32 v3, 2, v0
	s_lshl_b32 s17, s29, 2
	s_lshl_b64 s[8:9], s[8:9], 2
	v_add_u32_e32 v2, 0, v3
	s_add_u32 s18, s36, s8
	s_mov_b64 s[10:11], 0
	v_add_u32_e32 v4, 0x80, v2
	s_addc_u32 s19, s37, s9
	v_mov_b32_e32 v5, 0
	v_mov_b32_e32 v2, s6
	v_cmp_ne_u32_e64 s[6:7], 1, v6
	s_branch .LBB22_17
.LBB22_15:                              ;   in Loop: Header=BB22_17 Depth=1
	s_waitcnt vmcnt(0)
	v_fmac_f32_e32 v7, s22, v6
	v_max_f32_e32 v2, v2, v2
	v_max_f32_e32 v2, v2, v7
	ds_write_b32 v4, v7
.LBB22_16:                              ;   in Loop: Header=BB22_17 Depth=1
	s_or_b64 exec, exec, s[12:13]
	s_add_i32 s14, s14, s29
	s_cmp_ge_i32 s14, s28
	s_cselect_b64 s[12:13], -1, 0
	s_xor_b64 s[8:9], s[8:9], -1
	s_or_b64 s[8:9], s[8:9], s[12:13]
	s_and_b64 s[8:9], exec, s[8:9]
	v_add_co_u32_e32 v3, vcc, s17, v3
	v_add_u32_e32 v4, s17, v4
	s_or_b64 s[10:11], s[8:9], s[10:11]
	v_addc_co_u32_e32 v5, vcc, 0, v5, vcc
	s_andn2_b64 exec, exec, s[10:11]
	s_cbranch_execz .LBB22_20
.LBB22_17:                              ; =>This Inner Loop Header: Depth=1
	v_add_u32_e32 v6, s14, v0
	v_cmp_gt_i32_e64 s[8:9], s28, v6
	s_and_saveexec_b64 s[12:13], s[8:9]
	s_cbranch_execz .LBB22_16
; %bb.18:                               ;   in Loop: Header=BB22_17 Depth=1
	v_mov_b32_e32 v7, s19
	v_add_co_u32_e32 v6, vcc, s18, v3
	v_addc_co_u32_e32 v7, vcc, v7, v5, vcc
	global_load_dword v6, v[6:7], off
	s_and_b64 vcc, exec, s[6:7]
	v_mov_b32_e32 v7, 0
	s_cbranch_vccnz .LBB22_15
; %bb.19:                               ;   in Loop: Header=BB22_17 Depth=1
	v_mov_b32_e32 v8, s16
	v_add_co_u32_e32 v7, vcc, s15, v3
	v_addc_co_u32_e32 v8, vcc, v8, v5, vcc
	global_load_dword v7, v[7:8], off
	s_waitcnt vmcnt(0)
	v_mul_f32_e32 v7, v1, v7
	s_branch .LBB22_15
.LBB22_20:
	s_or_b64 exec, exec, s[10:11]
.LBB22_21:
	v_mbcnt_lo_u32_b32 v1, -1, 0
	v_mbcnt_hi_u32_b32 v1, -1, v1
	v_and_b32_e32 v3, 0x60, v1
	v_add_u32_e32 v3, 32, v3
	v_xor_b32_e32 v4, 16, v1
	v_cmp_lt_i32_e32 vcc, v4, v3
	v_cndmask_b32_e32 v4, v1, v4, vcc
	v_lshlrev_b32_e32 v41, 2, v4
	ds_bpermute_b32 v4, v41, v2
	v_xor_b32_e32 v5, 8, v1
	v_max_f32_e32 v2, v2, v2
	v_cmp_lt_i32_e32 vcc, v5, v3
	s_cmp_gt_u32 s29, 32
	s_waitcnt lgkmcnt(0)
	v_max_f32_e32 v4, v4, v4
	v_max_f32_e32 v2, v2, v4
	v_cndmask_b32_e32 v4, v1, v5, vcc
	v_lshlrev_b32_e32 v42, 2, v4
	ds_bpermute_b32 v4, v42, v2
	v_xor_b32_e32 v5, 4, v1
	v_cmp_lt_i32_e32 vcc, v5, v3
	s_mov_b64 s[48:49], -1
	s_cselect_b64 s[36:37], -1, 0
	s_waitcnt lgkmcnt(0)
	v_max_f32_e32 v4, v4, v4
	v_max_f32_e32 v2, v2, v4
	v_cndmask_b32_e32 v4, v1, v5, vcc
	v_lshlrev_b32_e32 v43, 2, v4
	ds_bpermute_b32 v4, v43, v2
	v_xor_b32_e32 v5, 2, v1
	v_cmp_lt_i32_e32 vcc, v5, v3
	s_cmp_lt_u32 s29, 33
	s_mov_b64 s[38:39], 0
	s_waitcnt lgkmcnt(0)
	v_max_f32_e32 v4, v4, v4
	v_max_f32_e32 v2, v2, v4
	v_cndmask_b32_e32 v4, v1, v5, vcc
	v_lshlrev_b32_e32 v44, 2, v4
	ds_bpermute_b32 v4, v44, v2
	v_xor_b32_e32 v5, 1, v1
	v_cmp_lt_i32_e32 vcc, v5, v3
	v_cndmask_b32_e32 v1, v1, v5, vcc
	v_lshlrev_b32_e32 v45, 2, v1
	s_waitcnt lgkmcnt(0)
	v_max_f32_e32 v4, v4, v4
	v_max_f32_e32 v2, v2, v4
	ds_bpermute_b32 v1, v45, v2
	s_waitcnt lgkmcnt(0)
	v_max_f32_e32 v1, v1, v1
	v_max_f32_e32 v46, v2, v1
	s_cbranch_scc1 .LBB22_30
; %bb.22:
	s_cmpk_gt_u32 s29, 0x400
	s_cselect_b64 s[6:7], -1, 0
	s_and_b32 s8, s29, 31
	s_cmp_lg_u32 s8, 0
	s_cselect_b64 s[8:9], -1, 0
	s_or_b64 s[8:9], s[6:7], s[8:9]
	s_mov_b64 s[6:7], -1
	s_mov_b64 s[48:49], 0
	s_and_b64 vcc, exec, s[8:9]
	s_mov_b64 s[8:9], 0
	s_cbranch_vccnz .LBB22_33
; %bb.23:
	s_andn2_b64 vcc, exec, s[6:7]
	s_cbranch_vccz .LBB22_34
.LBB22_24:
	s_and_b64 vcc, exec, s[48:49]
	s_cbranch_vccz .LBB22_31
.LBB22_25:
	s_andn2_b64 vcc, exec, s[44:45]
	s_cbranch_vccnz .LBB22_39
; %bb.26:
	v_lshl_add_u32 v1, v0, 2, 0
	s_mov_b32 s14, 0
	v_add_u32_e32 v2, 0x80, v1
	s_lshl_b32 s15, s29, 2
	v_mov_b32_e32 v1, 0
	s_mov_b64 s[10:11], 0
	s_mov_b32 s16, 0x3fb8aa3b
	s_mov_b32 s17, 0xc2ce8ed0
	;; [unrolled: 1-line block ×3, first 2 shown]
	v_mov_b32_e32 v3, 0x7f800000
	s_branch .LBB22_28
.LBB22_27:                              ;   in Loop: Header=BB22_28 Depth=1
	s_or_b64 exec, exec, s[12:13]
	s_add_i32 s14, s14, s29
	s_cmp_ge_i32 s14, s28
	s_cselect_b64 s[6:7], -1, 0
	s_xor_b64 s[12:13], vcc, -1
	s_or_b64 s[6:7], s[12:13], s[6:7]
	s_and_b64 s[6:7], exec, s[6:7]
	s_or_b64 s[10:11], s[6:7], s[10:11]
	v_add_u32_e32 v2, s15, v2
	s_andn2_b64 exec, exec, s[10:11]
	s_cbranch_execz .LBB22_32
.LBB22_28:                              ; =>This Inner Loop Header: Depth=1
	v_add_u32_e32 v4, s14, v0
	v_cmp_gt_i32_e32 vcc, s28, v4
	s_and_saveexec_b64 s[12:13], vcc
	s_cbranch_execz .LBB22_27
; %bb.29:                               ;   in Loop: Header=BB22_28 Depth=1
	ds_read_b32 v4, v2
	s_waitcnt lgkmcnt(0)
	v_sub_f32_e32 v4, v4, v46
	v_mul_f32_e32 v5, 0x3fb8aa3b, v4
	v_fma_f32 v6, v4, s16, -v5
	v_rndne_f32_e32 v7, v5
	v_fmac_f32_e32 v6, 0x32a5705f, v4
	v_sub_f32_e32 v5, v5, v7
	v_add_f32_e32 v5, v5, v6
	v_cvt_i32_f32_e32 v7, v7
	v_exp_f32_e32 v5, v5
	v_cmp_ngt_f32_e64 s[6:7], s17, v4
	v_ldexp_f32 v5, v5, v7
	v_cndmask_b32_e64 v5, 0, v5, s[6:7]
	v_cmp_nlt_f32_e64 s[6:7], s18, v4
	v_cndmask_b32_e64 v4, v3, v5, s[6:7]
	v_add_f32_e32 v1, v1, v4
	ds_write_b32 v2, v4
	s_branch .LBB22_27
.LBB22_30:
	s_mov_b64 s[8:9], 0
	s_and_b64 vcc, exec, s[48:49]
	s_cbranch_vccnz .LBB22_25
.LBB22_31:
                                        ; implicit-def: $vgpr3
	s_mov_b64 s[6:7], 0
	s_and_b64 vcc, exec, s[8:9]
	s_cbranch_vccnz .LBB22_44
	s_branch .LBB22_45
.LBB22_32:
	s_or_b64 exec, exec, s[10:11]
	s_branch .LBB22_40
.LBB22_33:
	s_add_u32 s8, s4, 0xa0
	s_addc_u32 s9, s5, 0
	s_getpc_b64 s[6:7]
	s_add_u32 s6, s6, .str.2@rel32@lo+4
	s_addc_u32 s7, s7, .str.2@rel32@hi+12
	s_getpc_b64 s[10:11]
	s_add_u32 s10, s10, .str.3@rel32@lo+4
	s_addc_u32 s11, s11, .str.3@rel32@hi+12
	s_getpc_b64 s[12:13]
	s_add_u32 s12, s12, __PRETTY_FUNCTION__._ZL12block_reduceIL19block_reduce_method0ELj0EfET1_S1_PS1_@rel32@lo+4
	s_addc_u32 s13, s13, __PRETTY_FUNCTION__._ZL12block_reduceIL19block_reduce_method0ELj0EfET1_S1_PS1_@rel32@hi+12
	s_getpc_b64 s[14:15]
	s_add_u32 s14, s14, __assert_fail@rel32@lo+4
	s_addc_u32 s15, s15, __assert_fail@rel32@hi+12
	v_mov_b32_e32 v47, v0
	v_mov_b32_e32 v0, s6
	;; [unrolled: 1-line block ×8, first 2 shown]
	s_mov_b64 s[50:51], s[4:5]
	s_swappc_b64 s[30:31], s[14:15]
	v_mov_b32_e32 v0, v47
	s_mov_b64 s[4:5], s[50:51]
	s_mov_b64 s[8:9], -1
	s_cbranch_execnz .LBB22_24
.LBB22_34:
	v_and_b32_e32 v1, 31, v0
	v_cmp_eq_u32_e32 vcc, 0, v1
	s_and_saveexec_b64 s[6:7], vcc
; %bb.35:
	v_lshrrev_b32_e32 v2, 3, v0
	v_add_u32_e32 v2, 0, v2
	ds_write_b32 v2, v46
; %bb.36:
	s_or_b64 exec, exec, s[6:7]
	s_lshr_b32 s6, s29, 5
	v_cmp_gt_u32_e32 vcc, s6, v1
	v_mov_b32_e32 v2, 0xff800000
	s_waitcnt lgkmcnt(0)
	s_barrier
	s_and_saveexec_b64 s[6:7], vcc
; %bb.37:
	v_lshl_add_u32 v1, v1, 2, 0
	ds_read_b32 v2, v1
; %bb.38:
	s_or_b64 exec, exec, s[6:7]
	s_waitcnt lgkmcnt(0)
	ds_bpermute_b32 v1, v41, v2
	v_max_f32_e32 v2, v2, v2
	s_waitcnt lgkmcnt(0)
	v_max_f32_e32 v1, v1, v1
	v_max_f32_e32 v1, v2, v1
	ds_bpermute_b32 v2, v42, v1
	s_waitcnt lgkmcnt(0)
	v_max_f32_e32 v2, v2, v2
	v_max_f32_e32 v1, v1, v2
	ds_bpermute_b32 v2, v43, v1
	;; [unrolled: 4-line block ×4, first 2 shown]
	s_waitcnt lgkmcnt(0)
	v_max_f32_e32 v2, v2, v2
	v_max_f32_e32 v46, v1, v2
	s_cbranch_execnz .LBB22_25
	s_branch .LBB22_31
.LBB22_39:
	v_mov_b32_e32 v1, 0
.LBB22_40:
	ds_bpermute_b32 v2, v41, v1
	s_andn2_b64 vcc, exec, s[36:37]
	s_waitcnt lgkmcnt(0)
	v_add_f32_e32 v1, v1, v2
	ds_bpermute_b32 v2, v42, v1
	s_waitcnt lgkmcnt(0)
	v_add_f32_e32 v1, v1, v2
	ds_bpermute_b32 v2, v43, v1
	;; [unrolled: 3-line block ×4, first 2 shown]
	s_cbranch_vccnz .LBB22_43
; %bb.41:
	s_cmpk_gt_u32 s29, 0x400
	s_cselect_b64 s[6:7], -1, 0
	s_and_b32 s10, s29, 31
	s_cmp_lg_u32 s10, 0
	s_cselect_b64 s[10:11], -1, 0
	s_or_b64 s[10:11], s[6:7], s[10:11]
	s_mov_b64 s[6:7], -1
	s_and_b64 vcc, exec, s[10:11]
	s_cbranch_vccz .LBB22_60
; %bb.42:
	s_add_u32 s8, s4, 0xa0
	s_addc_u32 s9, s5, 0
	s_getpc_b64 s[4:5]
	s_add_u32 s4, s4, .str.2@rel32@lo+4
	s_addc_u32 s5, s5, .str.2@rel32@hi+12
	s_getpc_b64 s[6:7]
	s_add_u32 s6, s6, .str.3@rel32@lo+4
	s_addc_u32 s7, s7, .str.3@rel32@hi+12
	s_getpc_b64 s[10:11]
	s_add_u32 s10, s10, __PRETTY_FUNCTION__._ZL12block_reduceIL19block_reduce_method1ELj0EfET1_S1_PS1_@rel32@lo+4
	s_addc_u32 s11, s11, __PRETTY_FUNCTION__._ZL12block_reduceIL19block_reduce_method1ELj0EfET1_S1_PS1_@rel32@hi+12
	s_getpc_b64 s[12:13]
	s_add_u32 s12, s12, __assert_fail@rel32@lo+4
	s_addc_u32 s13, s13, __assert_fail@rel32@hi+12
	v_mov_b32_e32 v54, v0
	v_mov_b32_e32 v0, s4
	;; [unrolled: 1-line block ×8, first 2 shown]
	s_swappc_b64 s[30:31], s[12:13]
	v_mov_b32_e32 v0, v54
	s_mov_b64 s[6:7], 0
	s_mov_b64 s[38:39], 0
	v_add_f32_e32 v3, v47, v53
	s_cbranch_execnz .LBB22_44
	s_branch .LBB22_45
.LBB22_43:
	s_mov_b64 s[6:7], 0
	s_mov_b64 s[38:39], -1
	s_waitcnt lgkmcnt(0)
	v_add_f32_e32 v3, v47, v53
	s_and_b64 vcc, exec, s[8:9]
	s_cbranch_vccz .LBB22_45
.LBB22_44:
	; divergent unreachable
.LBB22_45:
	s_andn2_b64 vcc, exec, s[6:7]
	s_cbranch_vccz .LBB22_47
; %bb.46:
	s_and_b64 vcc, exec, s[38:39]
	s_cbranch_vccnz .LBB22_52
	s_branch .LBB22_59
.LBB22_47:
	v_and_b32_e32 v1, 31, v0
	v_cmp_eq_u32_e32 vcc, 0, v1
	s_and_saveexec_b64 s[4:5], vcc
; %bb.48:
	v_lshrrev_b32_e32 v2, 3, v0
	v_add_u32_e32 v2, 0, v2
	ds_write_b32 v2, v3
; %bb.49:
	s_or_b64 exec, exec, s[4:5]
	s_lshr_b32 s4, s29, 5
	v_cmp_gt_u32_e32 vcc, s4, v1
	v_mov_b32_e32 v2, 0
	s_waitcnt lgkmcnt(0)
	s_barrier
	s_and_saveexec_b64 s[4:5], vcc
; %bb.50:
	v_lshl_add_u32 v1, v1, 2, 0
	ds_read_b32 v2, v1
; %bb.51:
	s_or_b64 exec, exec, s[4:5]
	s_waitcnt lgkmcnt(0)
	ds_bpermute_b32 v1, v41, v2
	s_waitcnt lgkmcnt(0)
	v_add_f32_e32 v1, v2, v1
	ds_bpermute_b32 v2, v42, v1
	s_waitcnt lgkmcnt(0)
	v_add_f32_e32 v1, v1, v2
	;; [unrolled: 3-line block ×5, first 2 shown]
	s_cbranch_execz .LBB22_59
.LBB22_52:
	s_andn2_b64 vcc, exec, s[46:47]
	s_cbranch_vccnz .LBB22_54
; %bb.53:
	s_lshl_b64 s[4:5], s[26:27], 2
	s_add_u32 s4, s40, s4
	s_addc_u32 s5, s41, s5
	v_mov_b32_e32 v1, 0
	global_load_dword v1, v1, s[4:5]
	s_mov_b32 s4, 0x3fb8aa3b
	s_mov_b32 s5, 0x42b17218
	s_waitcnt vmcnt(0)
	v_sub_f32_e32 v1, v1, v46
	v_mul_f32_e32 v2, 0x3fb8aa3b, v1
	v_fma_f32 v4, v1, s4, -v2
	v_rndne_f32_e32 v5, v2
	v_fmac_f32_e32 v4, 0x32a5705f, v1
	v_sub_f32_e32 v2, v2, v5
	v_add_f32_e32 v2, v2, v4
	v_cvt_i32_f32_e32 v5, v5
	v_exp_f32_e32 v2, v2
	s_mov_b32 s4, 0xc2ce8ed0
	v_cmp_ngt_f32_e32 vcc, s4, v1
	v_mov_b32_e32 v4, 0x7f800000
	v_ldexp_f32 v2, v2, v5
	v_cndmask_b32_e32 v2, 0, v2, vcc
	v_cmp_nlt_f32_e32 vcc, s5, v1
	v_cndmask_b32_e32 v1, v4, v2, vcc
	v_add_f32_e32 v3, v3, v1
.LBB22_54:
	s_andn2_b64 vcc, exec, s[44:45]
	s_cbranch_vccnz .LBB22_59
; %bb.55:
	v_div_scale_f32 v1, s[4:5], v3, v3, 1.0
	v_div_scale_f32 v2, vcc, 1.0, v3, 1.0
	s_mul_hi_i32 s5, s52, s34
	s_mul_i32 s4, s52, s34
	s_lshl_b32 s11, s29, 2
	s_lshl_b64 s[4:5], s[4:5], 2
	s_add_u32 s4, s42, s4
	s_addc_u32 s5, s43, s5
	s_mov_b32 s10, 0
                                        ; implicit-def: $sgpr6_sgpr7
	v_rcp_f32_e32 v4, v1
	v_fma_f32 v5, -v1, v4, 1.0
	v_fmac_f32_e32 v4, v5, v4
	v_mul_f32_e32 v5, v2, v4
	v_fma_f32 v6, -v1, v5, v2
	v_fmac_f32_e32 v5, v6, v4
	v_fma_f32 v1, -v1, v5, v2
	v_div_fmas_f32 v5, v1, v4, v5
	v_lshlrev_b32_e32 v1, 2, v0
	v_add_u32_e32 v2, 0, v1
	v_add_u32_e32 v4, 0x80, v2
	v_mov_b32_e32 v2, s5
	v_add_co_u32_e32 v1, vcc, s4, v1
	v_addc_co_u32_e32 v2, vcc, 0, v2, vcc
	s_mov_b64 s[4:5], 0
	v_div_fixup_f32 v3, v5, v3, 1.0
	s_branch .LBB22_57
.LBB22_56:                              ;   in Loop: Header=BB22_57 Depth=1
	s_or_b64 exec, exec, s[8:9]
	s_and_b64 s[8:9], exec, s[6:7]
	s_or_b64 s[4:5], s[8:9], s[4:5]
	s_andn2_b64 exec, exec, s[4:5]
	s_cbranch_execz .LBB22_59
.LBB22_57:                              ; =>This Inner Loop Header: Depth=1
	v_add_u32_e32 v5, s10, v0
	v_cmp_gt_i32_e32 vcc, s28, v5
	s_or_b64 s[6:7], s[6:7], exec
	s_and_saveexec_b64 s[8:9], vcc
	s_cbranch_execz .LBB22_56
; %bb.58:                               ;   in Loop: Header=BB22_57 Depth=1
	ds_read_b32 v5, v4
	s_add_i32 s10, s10, s29
	s_cmp_ge_i32 s10, s28
	s_cselect_b64 s[12:13], -1, 0
	s_andn2_b64 s[6:7], s[6:7], exec
	s_waitcnt lgkmcnt(0)
	v_mul_f32_e32 v5, v3, v5
	global_store_dword v[1:2], v5, off
	v_add_co_u32_e32 v1, vcc, s11, v1
	s_and_b64 s[12:13], s[12:13], exec
	v_add_u32_e32 v4, s11, v4
	v_addc_co_u32_e32 v2, vcc, 0, v2, vcc
	s_or_b64 s[6:7], s[6:7], s[12:13]
	s_branch .LBB22_56
.LBB22_59:
	s_endpgm
.LBB22_60:
	s_mov_b64 s[38:39], 0
	s_waitcnt lgkmcnt(0)
	v_add_f32_e32 v3, v47, v53
	s_and_b64 vcc, exec, s[8:9]
	s_cbranch_vccnz .LBB22_44
	s_branch .LBB22_45
	.section	.rodata,"a",@progbits
	.p2align	6, 0x0
	.amdhsa_kernel _ZL12soft_max_f32ILb1ELi0ELi0EfEvPKfPKT2_S1_Pf15soft_max_params
		.amdhsa_group_segment_fixed_size 0
		.amdhsa_private_segment_fixed_size 64
		.amdhsa_kernarg_size 416
		.amdhsa_user_sgpr_count 8
		.amdhsa_user_sgpr_private_segment_buffer 1
		.amdhsa_user_sgpr_dispatch_ptr 0
		.amdhsa_user_sgpr_queue_ptr 0
		.amdhsa_user_sgpr_kernarg_segment_ptr 1
		.amdhsa_user_sgpr_dispatch_id 0
		.amdhsa_user_sgpr_flat_scratch_init 1
		.amdhsa_user_sgpr_private_segment_size 0
		.amdhsa_uses_dynamic_stack 0
		.amdhsa_system_sgpr_private_segment_wavefront_offset 1
		.amdhsa_system_sgpr_workgroup_id_x 1
		.amdhsa_system_sgpr_workgroup_id_y 1
		.amdhsa_system_sgpr_workgroup_id_z 1
		.amdhsa_system_sgpr_workgroup_info 0
		.amdhsa_system_vgpr_workitem_id 0
		.amdhsa_next_free_vgpr 55
		.amdhsa_next_free_sgpr 53
		.amdhsa_reserve_vcc 1
		.amdhsa_reserve_flat_scratch 1
		.amdhsa_float_round_mode_32 0
		.amdhsa_float_round_mode_16_64 0
		.amdhsa_float_denorm_mode_32 3
		.amdhsa_float_denorm_mode_16_64 3
		.amdhsa_dx10_clamp 1
		.amdhsa_ieee_mode 1
		.amdhsa_fp16_overflow 0
		.amdhsa_exception_fp_ieee_invalid_op 0
		.amdhsa_exception_fp_denorm_src 0
		.amdhsa_exception_fp_ieee_div_zero 0
		.amdhsa_exception_fp_ieee_overflow 0
		.amdhsa_exception_fp_ieee_underflow 0
		.amdhsa_exception_fp_ieee_inexact 0
		.amdhsa_exception_int_div_zero 0
	.end_amdhsa_kernel
	.section	.text._ZL12soft_max_f32ILb1ELi0ELi0EfEvPKfPKT2_S1_Pf15soft_max_params,"axG",@progbits,_ZL12soft_max_f32ILb1ELi0ELi0EfEvPKfPKT2_S1_Pf15soft_max_params,comdat
.Lfunc_end22:
	.size	_ZL12soft_max_f32ILb1ELi0ELi0EfEvPKfPKT2_S1_Pf15soft_max_params, .Lfunc_end22-_ZL12soft_max_f32ILb1ELi0ELi0EfEvPKfPKT2_S1_Pf15soft_max_params
                                        ; -- End function
	.set _ZL12soft_max_f32ILb1ELi0ELi0EfEvPKfPKT2_S1_Pf15soft_max_params.num_vgpr, max(55, .L__assert_fail.num_vgpr)
	.set _ZL12soft_max_f32ILb1ELi0ELi0EfEvPKfPKT2_S1_Pf15soft_max_params.num_agpr, max(0, .L__assert_fail.num_agpr)
	.set _ZL12soft_max_f32ILb1ELi0ELi0EfEvPKfPKT2_S1_Pf15soft_max_params.numbered_sgpr, max(53, .L__assert_fail.numbered_sgpr)
	.set _ZL12soft_max_f32ILb1ELi0ELi0EfEvPKfPKT2_S1_Pf15soft_max_params.num_named_barrier, max(0, .L__assert_fail.num_named_barrier)
	.set _ZL12soft_max_f32ILb1ELi0ELi0EfEvPKfPKT2_S1_Pf15soft_max_params.private_seg_size, 0+max(.L__assert_fail.private_seg_size)
	.set _ZL12soft_max_f32ILb1ELi0ELi0EfEvPKfPKT2_S1_Pf15soft_max_params.uses_vcc, or(1, .L__assert_fail.uses_vcc)
	.set _ZL12soft_max_f32ILb1ELi0ELi0EfEvPKfPKT2_S1_Pf15soft_max_params.uses_flat_scratch, or(1, .L__assert_fail.uses_flat_scratch)
	.set _ZL12soft_max_f32ILb1ELi0ELi0EfEvPKfPKT2_S1_Pf15soft_max_params.has_dyn_sized_stack, or(0, .L__assert_fail.has_dyn_sized_stack)
	.set _ZL12soft_max_f32ILb1ELi0ELi0EfEvPKfPKT2_S1_Pf15soft_max_params.has_recursion, or(0, .L__assert_fail.has_recursion)
	.set _ZL12soft_max_f32ILb1ELi0ELi0EfEvPKfPKT2_S1_Pf15soft_max_params.has_indirect_call, or(0, .L__assert_fail.has_indirect_call)
	.section	.AMDGPU.csdata,"",@progbits
; Kernel info:
; codeLenInByte = 4636
; TotalNumSgprs: 59
; NumVgprs: 55
; ScratchSize: 64
; MemoryBound: 0
; FloatMode: 240
; IeeeMode: 1
; LDSByteSize: 0 bytes/workgroup (compile time only)
; SGPRBlocks: 7
; VGPRBlocks: 13
; NumSGPRsForWavesPerEU: 59
; NumVGPRsForWavesPerEU: 55
; Occupancy: 4
; WaveLimiterHint : 1
; COMPUTE_PGM_RSRC2:SCRATCH_EN: 1
; COMPUTE_PGM_RSRC2:USER_SGPR: 8
; COMPUTE_PGM_RSRC2:TRAP_HANDLER: 0
; COMPUTE_PGM_RSRC2:TGID_X_EN: 1
; COMPUTE_PGM_RSRC2:TGID_Y_EN: 1
; COMPUTE_PGM_RSRC2:TGID_Z_EN: 1
; COMPUTE_PGM_RSRC2:TIDIG_COMP_CNT: 0
	.section	.text._ZL12soft_max_f32ILb0ELi0ELi0EfEvPKfPKT2_S1_Pf15soft_max_params,"axG",@progbits,_ZL12soft_max_f32ILb0ELi0ELi0EfEvPKfPKT2_S1_Pf15soft_max_params,comdat
	.globl	_ZL12soft_max_f32ILb0ELi0ELi0EfEvPKfPKT2_S1_Pf15soft_max_params ; -- Begin function _ZL12soft_max_f32ILb0ELi0ELi0EfEvPKfPKT2_S1_Pf15soft_max_params
	.p2align	8
	.type	_ZL12soft_max_f32ILb0ELi0ELi0EfEvPKfPKT2_S1_Pf15soft_max_params,@function
_ZL12soft_max_f32ILb0ELi0ELi0EfEvPKfPKT2_S1_Pf15soft_max_params: ; @_ZL12soft_max_f32ILb0ELi0ELi0EfEvPKfPKT2_S1_Pf15soft_max_params
; %bb.0:
	s_add_u32 flat_scratch_lo, s6, s11
	s_addc_u32 flat_scratch_hi, s7, 0
	s_load_dwordx8 s[16:23], s[4:5], 0x68
	s_load_dwordx2 s[6:7], s[4:5], 0x88
	s_add_u32 s0, s0, s11
	s_addc_u32 s1, s1, 0
	s_mov_b32 s27, 0
	s_add_u32 s14, s4, 0xa0
	s_addc_u32 s15, s5, 0
	s_mov_b32 s12, s27
	s_waitcnt lgkmcnt(0)
	s_mov_b32 s13, s23
	s_mov_b32 s26, s9
	s_cmp_lg_u64 s[12:13], 0
	s_mov_b32 s32, 0
	s_cbranch_scc0 .LBB23_10
; %bb.1:
	s_ashr_i32 s12, s23, 31
	s_add_u32 s24, s22, s12
	s_mov_b32 s13, s12
	s_addc_u32 s25, s23, s12
	s_xor_b64 s[24:25], s[24:25], s[12:13]
	v_cvt_f32_u32_e32 v1, s24
	v_cvt_f32_u32_e32 v2, s25
	s_sub_u32 s9, 0, s24
	s_subb_u32 s11, 0, s25
	v_madmk_f32 v1, v2, 0x4f800000, v1
	v_rcp_f32_e32 v1, v1
	v_mul_f32_e32 v1, 0x5f7ffffc, v1
	v_mul_f32_e32 v2, 0x2f800000, v1
	v_trunc_f32_e32 v2, v2
	v_madmk_f32 v1, v2, 0xcf800000, v1
	v_cvt_u32_f32_e32 v2, v2
	v_cvt_u32_f32_e32 v1, v1
	v_readfirstlane_b32 s23, v2
	v_readfirstlane_b32 s28, v1
	s_mul_i32 s29, s9, s23
	s_mul_hi_u32 s31, s9, s28
	s_mul_i32 s30, s11, s28
	s_add_i32 s29, s31, s29
	s_add_i32 s29, s29, s30
	s_mul_i32 s33, s9, s28
	s_mul_i32 s31, s28, s29
	s_mul_hi_u32 s34, s28, s33
	s_mul_hi_u32 s30, s28, s29
	s_add_u32 s31, s34, s31
	s_addc_u32 s30, 0, s30
	s_mul_hi_u32 s35, s23, s33
	s_mul_i32 s33, s23, s33
	s_add_u32 s31, s31, s33
	s_mul_hi_u32 s34, s23, s29
	s_addc_u32 s30, s30, s35
	s_addc_u32 s31, s34, 0
	s_mul_i32 s29, s23, s29
	s_add_u32 s29, s30, s29
	s_addc_u32 s30, 0, s31
	s_add_u32 s31, s28, s29
	s_cselect_b64 s[28:29], -1, 0
	s_cmp_lg_u64 s[28:29], 0
	s_addc_u32 s23, s23, s30
	s_mul_i32 s28, s9, s23
	s_mul_hi_u32 s29, s9, s31
	s_add_i32 s28, s29, s28
	s_mul_i32 s11, s11, s31
	s_add_i32 s28, s28, s11
	s_mul_i32 s9, s9, s31
	s_mul_hi_u32 s29, s23, s9
	s_mul_i32 s30, s23, s9
	s_mul_i32 s34, s31, s28
	s_mul_hi_u32 s9, s31, s9
	s_mul_hi_u32 s33, s31, s28
	s_add_u32 s9, s9, s34
	s_addc_u32 s33, 0, s33
	s_add_u32 s9, s9, s30
	s_mul_hi_u32 s11, s23, s28
	s_addc_u32 s9, s33, s29
	s_addc_u32 s11, s11, 0
	s_mul_i32 s28, s23, s28
	s_add_u32 s9, s9, s28
	s_addc_u32 s11, 0, s11
	s_add_u32 s9, s31, s9
	s_cselect_b64 s[28:29], -1, 0
	s_cmp_lg_u64 s[28:29], 0
	s_addc_u32 s11, s23, s11
	s_add_u32 s28, s26, 0
	s_addc_u32 s29, 0, 0
	s_xor_b64 s[28:29], s[28:29], 0
	s_mul_i32 s30, s28, s11
	s_mul_hi_u32 s31, s28, s9
	s_mul_hi_u32 s23, s28, s11
	s_add_u32 s30, s31, s30
	s_addc_u32 s23, 0, s23
	s_mul_hi_u32 s33, s29, s9
	s_mul_i32 s9, s29, s9
	s_add_u32 s9, s30, s9
	s_mul_hi_u32 s31, s29, s11
	s_addc_u32 s9, s23, s33
	s_addc_u32 s23, s31, 0
	s_mul_i32 s11, s29, s11
	s_add_u32 s9, s9, s11
	s_addc_u32 s11, 0, s23
	s_mul_i32 s11, s24, s11
	s_mul_hi_u32 s23, s24, s9
	s_add_i32 s11, s23, s11
	s_mul_i32 s23, s25, s9
	s_add_i32 s11, s11, s23
	s_sub_i32 s23, s29, s11
	s_mul_i32 s9, s24, s9
	s_sub_u32 s9, s28, s9
	s_cselect_b64 s[30:31], -1, 0
	s_cmp_lg_u64 s[30:31], 0
	s_subb_u32 s23, s23, s25
	s_sub_u32 s28, s9, s24
	s_cselect_b64 s[34:35], -1, 0
	s_cmp_lg_u64 s[34:35], 0
	s_subb_u32 s33, s23, 0
	s_cmp_ge_u32 s33, s25
	s_cselect_b32 s36, -1, 0
	s_cmp_ge_u32 s28, s24
	s_cselect_b32 s37, -1, 0
	s_cmp_eq_u32 s33, s25
	s_cselect_b32 s36, s37, s36
	s_cmp_lg_u64 s[34:35], 0
	s_subb_u32 s23, s23, s25
	s_sub_u32 s37, s28, s24
	s_cselect_b64 s[34:35], -1, 0
	s_cmp_lg_u64 s[34:35], 0
	s_subb_u32 s23, s23, 0
	s_cmp_lg_u32 s36, 0
	s_cselect_b32 s28, s37, s28
	s_cselect_b32 s23, s23, s33
	s_cmp_lg_u64 s[30:31], 0
	s_subb_u32 s11, s29, s11
	s_cmp_ge_u32 s11, s25
	s_cselect_b32 s29, -1, 0
	s_cmp_ge_u32 s9, s24
	s_cselect_b32 s24, -1, 0
	s_cmp_eq_u32 s11, s25
	s_cselect_b32 s24, s24, s29
	s_cmp_lg_u32 s24, 0
	s_cselect_b32 s25, s23, s11
	s_cselect_b32 s24, s28, s9
	s_xor_b64 s[24:25], s[24:25], 0
	s_sub_u32 s24, s24, 0
	s_subb_u32 s25, s25, 0
	s_cbranch_execnz .LBB23_3
.LBB23_2:
	v_cvt_f32_u32_e32 v1, s22
	s_sub_i32 s9, 0, s22
	s_mov_b32 s25, 0
	v_rcp_iflag_f32_e32 v1, v1
	v_mul_f32_e32 v1, 0x4f7ffffe, v1
	v_cvt_u32_f32_e32 v1, v1
	v_readfirstlane_b32 s11, v1
	s_mul_i32 s9, s9, s11
	s_mul_hi_u32 s9, s11, s9
	s_add_i32 s11, s11, s9
	s_mul_hi_u32 s9, s26, s11
	s_mul_i32 s9, s9, s22
	s_sub_i32 s9, s26, s9
	s_sub_i32 s11, s9, s22
	s_cmp_ge_u32 s9, s22
	s_cselect_b32 s9, s11, s9
	s_sub_i32 s11, s9, s22
	s_cmp_ge_u32 s9, s22
	s_cselect_b32 s24, s11, s9
.LBB23_3:
	s_load_dwordx2 s[22:23], s[4:5], 0x90
	s_mov_b32 s12, 0
	s_mov_b32 s13, s7
	s_cmp_lg_u64 s[12:13], 0
	s_cbranch_scc0 .LBB23_11
; %bb.4:
	s_ashr_i32 s12, s7, 31
	s_add_u32 s28, s6, s12
	s_mov_b32 s13, s12
	s_addc_u32 s29, s7, s12
	s_xor_b64 s[28:29], s[28:29], s[12:13]
	v_cvt_f32_u32_e32 v1, s28
	v_cvt_f32_u32_e32 v2, s29
	s_sub_u32 s7, 0, s28
	s_subb_u32 s9, 0, s29
	v_madmk_f32 v1, v2, 0x4f800000, v1
	v_rcp_f32_e32 v1, v1
	v_mul_f32_e32 v1, 0x5f7ffffc, v1
	v_mul_f32_e32 v2, 0x2f800000, v1
	v_trunc_f32_e32 v2, v2
	v_madmk_f32 v1, v2, 0xcf800000, v1
	v_cvt_u32_f32_e32 v2, v2
	v_cvt_u32_f32_e32 v1, v1
	v_readfirstlane_b32 s11, v2
	v_readfirstlane_b32 s30, v1
	s_mul_i32 s31, s7, s11
	s_mul_hi_u32 s34, s7, s30
	s_mul_i32 s33, s9, s30
	s_add_i32 s31, s34, s31
	s_add_i32 s31, s31, s33
	s_mul_i32 s35, s7, s30
	s_mul_i32 s34, s30, s31
	s_mul_hi_u32 s36, s30, s35
	s_mul_hi_u32 s33, s30, s31
	s_add_u32 s34, s36, s34
	s_addc_u32 s33, 0, s33
	s_mul_hi_u32 s37, s11, s35
	s_mul_i32 s35, s11, s35
	s_add_u32 s34, s34, s35
	s_mul_hi_u32 s36, s11, s31
	s_addc_u32 s33, s33, s37
	s_addc_u32 s34, s36, 0
	s_mul_i32 s31, s11, s31
	s_add_u32 s31, s33, s31
	s_addc_u32 s33, 0, s34
	s_add_u32 s34, s30, s31
	s_cselect_b64 s[30:31], -1, 0
	s_cmp_lg_u64 s[30:31], 0
	s_addc_u32 s11, s11, s33
	s_mul_i32 s30, s7, s11
	s_mul_hi_u32 s31, s7, s34
	s_add_i32 s30, s31, s30
	s_mul_i32 s9, s9, s34
	s_add_i32 s30, s30, s9
	s_mul_i32 s7, s7, s34
	s_mul_hi_u32 s31, s11, s7
	s_mul_i32 s33, s11, s7
	s_mul_i32 s36, s34, s30
	s_mul_hi_u32 s7, s34, s7
	s_mul_hi_u32 s35, s34, s30
	s_add_u32 s7, s7, s36
	s_addc_u32 s35, 0, s35
	s_add_u32 s7, s7, s33
	s_mul_hi_u32 s9, s11, s30
	s_addc_u32 s7, s35, s31
	s_addc_u32 s9, s9, 0
	s_mul_i32 s30, s11, s30
	s_add_u32 s7, s7, s30
	s_addc_u32 s9, 0, s9
	s_add_u32 s7, s34, s7
	s_cselect_b64 s[30:31], -1, 0
	s_cmp_lg_u64 s[30:31], 0
	s_addc_u32 s9, s11, s9
	s_add_u32 s30, s10, 0
	s_addc_u32 s31, 0, 0
	s_xor_b64 s[30:31], s[30:31], 0
	s_mul_i32 s33, s30, s9
	s_mul_hi_u32 s34, s30, s7
	s_mul_hi_u32 s11, s30, s9
	s_add_u32 s33, s34, s33
	s_addc_u32 s11, 0, s11
	s_mul_hi_u32 s35, s31, s7
	s_mul_i32 s7, s31, s7
	s_add_u32 s7, s33, s7
	s_mul_hi_u32 s34, s31, s9
	s_addc_u32 s7, s11, s35
	s_addc_u32 s11, s34, 0
	s_mul_i32 s9, s31, s9
	s_add_u32 s7, s7, s9
	s_addc_u32 s9, 0, s11
	s_mul_i32 s9, s28, s9
	s_mul_hi_u32 s11, s28, s7
	s_add_i32 s9, s11, s9
	s_mul_i32 s11, s29, s7
	s_add_i32 s9, s9, s11
	s_sub_i32 s11, s31, s9
	s_mul_i32 s7, s28, s7
	s_sub_u32 s7, s30, s7
	s_cselect_b64 s[34:35], -1, 0
	s_cmp_lg_u64 s[34:35], 0
	s_subb_u32 s11, s11, s29
	s_sub_u32 s30, s7, s28
	s_cselect_b64 s[36:37], -1, 0
	s_cmp_lg_u64 s[36:37], 0
	s_subb_u32 s33, s11, 0
	s_cmp_ge_u32 s33, s29
	s_cselect_b32 s38, -1, 0
	s_cmp_ge_u32 s30, s28
	s_cselect_b32 s39, -1, 0
	s_cmp_eq_u32 s33, s29
	s_cselect_b32 s38, s39, s38
	s_cmp_lg_u64 s[36:37], 0
	s_subb_u32 s11, s11, s29
	s_sub_u32 s39, s30, s28
	s_cselect_b64 s[36:37], -1, 0
	s_cmp_lg_u64 s[36:37], 0
	s_subb_u32 s11, s11, 0
	s_cmp_lg_u32 s38, 0
	s_cselect_b32 s30, s39, s30
	s_cselect_b32 s11, s11, s33
	s_cmp_lg_u64 s[34:35], 0
	s_subb_u32 s9, s31, s9
	s_cmp_ge_u32 s9, s29
	s_cselect_b32 s31, -1, 0
	s_cmp_ge_u32 s7, s28
	s_cselect_b32 s28, -1, 0
	s_cmp_eq_u32 s9, s29
	s_cselect_b32 s28, s28, s31
	s_cmp_lg_u32 s28, 0
	s_cselect_b32 s29, s11, s9
	s_cselect_b32 s28, s30, s7
	s_xor_b64 s[28:29], s[28:29], 0
	s_sub_u32 s30, s28, 0
	s_subb_u32 s31, s29, 0
	s_cbranch_execnz .LBB23_6
.LBB23_5:
	v_cvt_f32_u32_e32 v1, s6
	s_sub_i32 s7, 0, s6
	s_mov_b32 s31, 0
	v_rcp_iflag_f32_e32 v1, v1
	v_mul_f32_e32 v1, 0x4f7ffffe, v1
	v_cvt_u32_f32_e32 v1, v1
	v_readfirstlane_b32 s9, v1
	s_mul_i32 s7, s7, s9
	s_mul_hi_u32 s7, s9, s7
	s_add_i32 s9, s9, s7
	s_mul_hi_u32 s7, s10, s9
	s_mul_i32 s7, s7, s6
	s_sub_i32 s7, s10, s7
	s_sub_i32 s9, s7, s6
	s_cmp_ge_u32 s7, s6
	s_cselect_b32 s7, s9, s7
	s_sub_i32 s9, s7, s6
	s_cmp_ge_u32 s7, s6
	s_cselect_b32 s30, s9, s7
.LBB23_6:
	s_load_dwordx2 s[28:29], s[4:5], 0x30
	s_load_dwordx2 s[34:35], s[4:5], 0xa0
	s_waitcnt lgkmcnt(0)
	v_cmp_le_f32_e64 s[6:7], s23, 0
	s_and_b64 vcc, exec, s[6:7]
	v_mov_b32_e32 v1, 1.0
	s_cbranch_vccnz .LBB23_8
; %bb.7:
	s_load_dword s9, s[4:5], 0x28
	s_load_dwordx2 s[6:7], s[4:5], 0x98
	s_add_i32 s11, s26, 1
	s_waitcnt lgkmcnt(0)
	s_sub_i32 s12, s26, s9
	v_mov_b32_e32 v2, s6
	s_lshl_b32 s6, s12, 1
	s_or_b32 s12, s6, 1
	s_cmp_lt_u32 s26, s9
	s_cselect_b64 vcc, -1, 0
	v_mov_b32_e32 v1, s7
	s_and_b64 s[6:7], vcc, exec
	s_cselect_b32 s6, s11, s12
	v_cndmask_b32_e32 v1, v1, v2, vcc
	v_cvt_f32_i32_e32 v2, s6
	v_cmp_neq_f32_e32 vcc, 1.0, v1
	s_mov_b32 s6, 0x3f2aaaab
	s_movk_i32 s9, 0x204
	v_cndmask_b32_e32 v2, 1.0, v2, vcc
	v_cmp_neq_f32_e32 vcc, 0, v2
	v_cndmask_b32_e32 v1, 1.0, v1, vcc
	v_frexp_mant_f32_e64 v3, |v1|
	v_cmp_gt_f32_e32 vcc, s6, v3
	v_cndmask_b32_e64 v4, 1.0, 2.0, vcc
	v_mul_f32_e32 v3, v3, v4
	v_add_f32_e32 v4, 1.0, v3
	v_rcp_f32_e32 v5, v4
	v_add_f32_e32 v6, -1.0, v3
	v_add_f32_e32 v7, -1.0, v4
	v_sub_f32_e32 v3, v3, v7
	v_mul_f32_e32 v7, v6, v5
	v_mul_f32_e32 v8, v4, v7
	v_fma_f32 v4, v7, v4, -v8
	v_fmac_f32_e32 v4, v7, v3
	v_add_f32_e32 v3, v8, v4
	v_sub_f32_e32 v9, v6, v3
	v_sub_f32_e32 v8, v3, v8
	;; [unrolled: 1-line block ×5, first 2 shown]
	v_add_f32_e32 v3, v4, v3
	v_add_f32_e32 v3, v9, v3
	v_mul_f32_e32 v3, v5, v3
	v_add_f32_e32 v5, v7, v3
	v_sub_f32_e32 v4, v5, v7
	v_sub_f32_e32 v6, v3, v4
	v_mul_f32_e32 v3, v5, v5
	v_fma_f32 v4, v5, v5, -v3
	v_add_f32_e32 v7, v6, v6
	v_fmac_f32_e32 v4, v5, v7
	v_add_f32_e32 v7, v3, v4
	v_mov_b32_e32 v8, 0x3e91f4c4
	v_sub_f32_e32 v3, v7, v3
	v_fmac_f32_e32 v8, 0x3e76c4e1, v7
	v_mov_b32_e32 v9, 0x3ecccdef
	v_sub_f32_e32 v3, v4, v3
	v_mul_f32_e32 v4, v5, v7
	v_fmac_f32_e32 v9, v7, v8
	v_fma_f32 v8, v7, v5, -v4
	v_fmac_f32_e32 v8, v7, v6
	v_fmac_f32_e32 v8, v3, v5
	v_add_f32_e32 v10, v4, v8
	v_sub_f32_e32 v4, v10, v4
	v_sub_f32_e32 v8, v8, v4
	v_mul_f32_e32 v4, v7, v9
	v_fma_f32 v7, v7, v9, -v4
	v_fmac_f32_e32 v7, v3, v9
	v_add_f32_e32 v9, v4, v7
	v_sub_f32_e32 v3, v9, v4
	v_sub_f32_e32 v7, v7, v3
	v_cvt_f64_f32_e64 v[3:4], |v1|
	v_add_f32_e32 v11, 0x3f2aaaaa, v9
	v_add_f32_e32 v12, 0xbf2aaaaa, v11
	;; [unrolled: 1-line block ×3, first 2 shown]
	v_frexp_exp_i32_f64_e32 v3, v[3:4]
	v_sub_f32_e32 v9, v9, v12
	v_add_f32_e32 v4, v7, v9
	v_add_f32_e32 v7, v11, v4
	v_sub_f32_e32 v9, v11, v7
	v_add_f32_e32 v4, v4, v9
	v_mul_f32_e32 v9, v10, v7
	v_fma_f32 v11, v10, v7, -v9
	v_subbrev_co_u32_e32 v3, vcc, 0, v3, vcc
	v_cvt_f32_i32_e32 v3, v3
	v_fmac_f32_e32 v11, v10, v4
	s_mov_b32 s6, 0x3f317218
	v_fmac_f32_e32 v11, v8, v7
	v_mul_f32_e32 v4, 0x3f317218, v3
	v_fma_f32 v7, v3, s6, -v4
	v_fmac_f32_e32 v7, 0xb102e308, v3
	v_ldexp_f32 v3, v6, 1
	v_add_f32_e32 v6, v4, v7
	v_sub_f32_e32 v4, v6, v4
	v_ldexp_f32 v5, v5, 1
	v_sub_f32_e32 v4, v7, v4
	v_add_f32_e32 v7, v9, v11
	v_sub_f32_e32 v8, v7, v9
	v_add_f32_e32 v9, v5, v7
	v_sub_f32_e32 v8, v11, v8
	v_sub_f32_e32 v5, v9, v5
	;; [unrolled: 1-line block ×3, first 2 shown]
	v_add_f32_e32 v3, v3, v8
	v_add_f32_e32 v3, v3, v5
	;; [unrolled: 1-line block ×3, first 2 shown]
	v_sub_f32_e32 v7, v5, v9
	v_sub_f32_e32 v3, v3, v7
	v_add_f32_e32 v7, v6, v5
	v_sub_f32_e32 v8, v7, v6
	v_sub_f32_e32 v9, v7, v8
	;; [unrolled: 1-line block ×4, first 2 shown]
	v_add_f32_e32 v5, v5, v6
	v_add_f32_e32 v6, v4, v3
	v_sub_f32_e32 v8, v6, v4
	v_sub_f32_e32 v9, v6, v8
	;; [unrolled: 1-line block ×4, first 2 shown]
	v_add_f32_e32 v3, v3, v4
	v_add_f32_e32 v4, v6, v5
	;; [unrolled: 1-line block ×3, first 2 shown]
	v_sub_f32_e32 v6, v5, v7
	v_sub_f32_e32 v4, v4, v6
	v_add_f32_e32 v3, v3, v4
	v_add_f32_e32 v4, v5, v3
	v_sub_f32_e32 v5, v4, v5
	v_sub_f32_e32 v3, v3, v5
	v_mul_f32_e32 v5, v2, v4
	v_fma_f32 v4, v2, v4, -v5
	v_fmac_f32_e32 v4, v2, v3
	v_add_f32_e32 v3, v5, v4
	v_cmp_class_f32_e64 vcc, v5, s9
	v_sub_f32_e32 v6, v3, v5
	v_cndmask_b32_e32 v3, v3, v5, vcc
	s_mov_b32 s7, 0x42b17218
	v_mov_b32_e32 v5, 0x37000000
	v_cmp_eq_f32_e32 vcc, s7, v3
	v_cndmask_b32_e32 v5, 0, v5, vcc
	v_sub_f32_e32 v4, v4, v6
	v_sub_f32_e32 v6, v3, v5
	s_mov_b32 s11, 0x3fb8aa3b
	v_mul_f32_e32 v7, 0x3fb8aa3b, v6
	v_fma_f32 v8, v6, s11, -v7
	v_rndne_f32_e32 v9, v7
	v_fmac_f32_e32 v8, 0x32a5705f, v6
	v_sub_f32_e32 v7, v7, v9
	v_add_f32_e32 v7, v7, v8
	v_exp_f32_e32 v7, v7
	v_cvt_i32_f32_e32 v8, v9
	s_mov_b32 s6, 0x7f800000
	v_cmp_neq_f32_e64 vcc, |v3|, s6
	s_mov_b32 s6, 0xc2ce8ed0
	v_cndmask_b32_e32 v3, 0, v4, vcc
	v_ldexp_f32 v4, v7, v8
	v_cmp_ngt_f32_e32 vcc, s6, v6
	v_add_f32_e32 v3, v5, v3
	v_cndmask_b32_e32 v4, 0, v4, vcc
	v_mov_b32_e32 v5, 0x7f800000
	v_cmp_nlt_f32_e32 vcc, s7, v6
	v_cndmask_b32_e32 v4, v5, v4, vcc
	v_fma_f32 v3, v4, v3, v4
	v_cmp_class_f32_e64 vcc, v4, s9
	v_cndmask_b32_e32 v3, v3, v4, vcc
	v_trunc_f32_e32 v4, v2
	v_cmp_eq_f32_e32 vcc, v4, v2
	v_mul_f32_e32 v4, 0.5, v2
	v_trunc_f32_e32 v7, v4
	v_cmp_neq_f32_e64 s[6:7], v7, v4
	s_and_b64 s[6:7], vcc, s[6:7]
	v_cndmask_b32_e64 v4, 1.0, v1, s[6:7]
	s_brev_b32 s11, -2
	v_mov_b32_e32 v6, 0x7fc00000
	v_bfi_b32 v3, s11, v3, v4
	v_cndmask_b32_e32 v4, v6, v3, vcc
	v_cmp_gt_f32_e32 vcc, 0, v1
	v_cndmask_b32_e32 v3, v3, v4, vcc
	v_cmp_eq_f32_e32 vcc, 0, v1
	v_cmp_gt_f32_e64 s[12:13], 0, v2
	s_xor_b64 s[12:13], s[12:13], vcc
	v_cmp_class_f32_e64 s[36:37], v1, s9
	v_cndmask_b32_e64 v2, v5, 0, s[12:13]
	v_cndmask_b32_e64 v4, 0, v1, s[6:7]
	v_bfi_b32 v2, s11, v2, v4
	s_or_b64 vcc, vcc, s[36:37]
	v_cndmask_b32_e32 v2, v3, v2, vcc
	v_cmp_o_f32_e32 vcc, v1, v1
	v_cndmask_b32_e32 v1, v6, v2, vcc
.LBB23_8:
	s_load_dwordx8 s[36:43], s[4:5], 0x0
	s_load_dword s7, s[14:15], 0xc
	s_waitcnt lgkmcnt(0)
	s_cmp_lg_u64 s[40:41], 0
	s_cselect_b64 s[46:47], -1, 0
	s_cmp_eq_u64 s[40:41], 0
	s_cbranch_scc1 .LBB23_12
; %bb.9:
	s_lshl_b64 s[12:13], s[26:27], 2
	s_add_u32 s12, s40, s12
	s_addc_u32 s13, s41, s13
	s_load_dword s6, s[12:13], 0x0
	s_branch .LBB23_13
.LBB23_10:
                                        ; implicit-def: $sgpr24_sgpr25
	s_branch .LBB23_2
.LBB23_11:
                                        ; implicit-def: $sgpr30_sgpr31
	s_branch .LBB23_5
.LBB23_12:
	s_mov_b32 s6, 0xff800000
.LBB23_13:
	s_mul_i32 s9, s35, s10
	s_add_i32 s9, s9, s26
	s_mul_i32 s52, s9, s34
	s_add_i32 s52, s52, s8
	s_bfe_i64 s[34:35], s[28:29], 0x200000
	s_and_b32 s29, 0xffff, s7
	s_cmp_gt_i32 s28, 0
	s_mov_b32 s14, 0
	s_cselect_b64 s[44:45], -1, 0
	s_cmp_lt_i32 s28, 1
	s_waitcnt lgkmcnt(0)
	v_mov_b32_e32 v2, s6
	s_cbranch_scc1 .LBB23_21
; %bb.14:
	s_mul_i32 s7, s17, s8
	s_mul_hi_u32 s9, s16, s8
	s_add_i32 s9, s9, s7
	s_mul_i32 s7, s16, s8
	s_mul_i32 s8, s24, s19
	s_mul_hi_u32 s10, s24, s18
	s_add_i32 s8, s10, s8
	s_mul_i32 s10, s25, s18
	s_add_i32 s8, s8, s10
	s_mul_i32 s10, s24, s18
	s_add_u32 s7, s10, s7
	s_addc_u32 s9, s8, s9
	s_mul_i32 s8, s30, s21
	s_mul_hi_u32 s10, s30, s20
	s_add_i32 s8, s10, s8
	s_mul_i32 s10, s31, s20
	s_add_i32 s10, s8, s10
	s_mul_i32 s8, s30, s20
	s_add_u32 s8, s7, s8
	s_addc_u32 s9, s9, s10
	s_lshr_b64 s[8:9], s[8:9], 2
	s_cmp_lg_u64 s[38:39], 0
	s_cselect_b64 s[12:13], -1, 0
	v_cndmask_b32_e64 v5, 0, 1, s[12:13]
	s_and_b64 s[12:13], s[12:13], exec
	s_cselect_b32 s9, s9, 0
	s_cselect_b32 s8, s8, 0
	s_lshl_b64 s[8:9], s[8:9], 2
	s_add_u32 s15, s38, s8
	s_addc_u32 s16, s39, s9
	s_mul_hi_i32 s9, s52, s34
	s_mul_i32 s8, s52, s34
	s_lshl_b64 s[8:9], s[8:9], 2
	s_add_u32 s17, s36, s8
	s_addc_u32 s18, s37, s9
	s_lshl_b32 s19, s29, 2
	s_add_u32 s20, s42, s8
	s_mov_b64 s[10:11], 0
	v_lshlrev_b32_e32 v3, 2, v0
	v_mov_b32_e32 v4, 0
	s_addc_u32 s21, s43, s9
	v_mov_b32_e32 v2, s6
	v_cmp_ne_u32_e64 s[6:7], 1, v5
	s_branch .LBB23_17
.LBB23_15:                              ;   in Loop: Header=BB23_17 Depth=1
	s_waitcnt vmcnt(0)
	v_fmac_f32_e32 v6, s22, v5
	v_mov_b32_e32 v5, s21
	v_add_co_u32_e32 v7, vcc, s20, v3
	v_max_f32_e32 v2, v2, v2
	v_addc_co_u32_e32 v8, vcc, v5, v4, vcc
	v_max_f32_e32 v2, v2, v6
	global_store_dword v[7:8], v6, off
.LBB23_16:                              ;   in Loop: Header=BB23_17 Depth=1
	s_or_b64 exec, exec, s[12:13]
	s_add_i32 s14, s14, s29
	s_cmp_ge_i32 s14, s28
	s_cselect_b64 s[12:13], -1, 0
	s_xor_b64 s[8:9], s[8:9], -1
	s_or_b64 s[8:9], s[8:9], s[12:13]
	s_and_b64 s[8:9], exec, s[8:9]
	v_add_co_u32_e32 v3, vcc, s19, v3
	s_or_b64 s[10:11], s[8:9], s[10:11]
	v_addc_co_u32_e32 v4, vcc, 0, v4, vcc
	s_andn2_b64 exec, exec, s[10:11]
	s_cbranch_execz .LBB23_20
.LBB23_17:                              ; =>This Inner Loop Header: Depth=1
	v_add_u32_e32 v5, s14, v0
	v_cmp_gt_i32_e64 s[8:9], s28, v5
	s_and_saveexec_b64 s[12:13], s[8:9]
	s_cbranch_execz .LBB23_16
; %bb.18:                               ;   in Loop: Header=BB23_17 Depth=1
	v_mov_b32_e32 v6, s18
	v_add_co_u32_e32 v5, vcc, s17, v3
	v_addc_co_u32_e32 v6, vcc, v6, v4, vcc
	global_load_dword v5, v[5:6], off
	s_and_b64 vcc, exec, s[6:7]
	v_mov_b32_e32 v6, 0
	s_cbranch_vccnz .LBB23_15
; %bb.19:                               ;   in Loop: Header=BB23_17 Depth=1
	v_mov_b32_e32 v7, s16
	v_add_co_u32_e32 v6, vcc, s15, v3
	v_addc_co_u32_e32 v7, vcc, v7, v4, vcc
	global_load_dword v6, v[6:7], off
	s_waitcnt vmcnt(0)
	v_mul_f32_e32 v6, v1, v6
	s_branch .LBB23_15
.LBB23_20:
	s_or_b64 exec, exec, s[10:11]
.LBB23_21:
	v_mbcnt_lo_u32_b32 v1, -1, 0
	v_mbcnt_hi_u32_b32 v1, -1, v1
	v_and_b32_e32 v3, 0x60, v1
	v_add_u32_e32 v3, 32, v3
	v_xor_b32_e32 v4, 16, v1
	v_cmp_lt_i32_e32 vcc, v4, v3
	v_cndmask_b32_e32 v4, v1, v4, vcc
	v_lshlrev_b32_e32 v41, 2, v4
	ds_bpermute_b32 v4, v41, v2
	v_xor_b32_e32 v5, 8, v1
	v_max_f32_e32 v2, v2, v2
	v_cmp_lt_i32_e32 vcc, v5, v3
	s_cmp_gt_u32 s29, 32
	s_waitcnt lgkmcnt(0)
	v_max_f32_e32 v4, v4, v4
	v_max_f32_e32 v2, v2, v4
	v_cndmask_b32_e32 v4, v1, v5, vcc
	v_lshlrev_b32_e32 v42, 2, v4
	ds_bpermute_b32 v4, v42, v2
	v_xor_b32_e32 v5, 4, v1
	v_cmp_lt_i32_e32 vcc, v5, v3
	s_mov_b64 s[48:49], -1
	s_cselect_b64 s[36:37], -1, 0
	s_waitcnt lgkmcnt(0)
	v_max_f32_e32 v4, v4, v4
	v_max_f32_e32 v2, v2, v4
	v_cndmask_b32_e32 v4, v1, v5, vcc
	v_lshlrev_b32_e32 v43, 2, v4
	ds_bpermute_b32 v4, v43, v2
	v_xor_b32_e32 v5, 2, v1
	v_cmp_lt_i32_e32 vcc, v5, v3
	s_cmp_lt_u32 s29, 33
	s_mov_b64 s[38:39], 0
	s_waitcnt lgkmcnt(0)
	v_max_f32_e32 v4, v4, v4
	v_max_f32_e32 v2, v2, v4
	v_cndmask_b32_e32 v4, v1, v5, vcc
	v_lshlrev_b32_e32 v44, 2, v4
	ds_bpermute_b32 v4, v44, v2
	v_xor_b32_e32 v5, 1, v1
	v_cmp_lt_i32_e32 vcc, v5, v3
	v_cndmask_b32_e32 v1, v1, v5, vcc
	v_lshlrev_b32_e32 v45, 2, v1
	s_waitcnt lgkmcnt(0)
	v_max_f32_e32 v4, v4, v4
	v_max_f32_e32 v2, v2, v4
	ds_bpermute_b32 v1, v45, v2
	s_waitcnt lgkmcnt(0)
	v_max_f32_e32 v1, v1, v1
	v_max_f32_e32 v46, v2, v1
	s_cbranch_scc1 .LBB23_30
; %bb.22:
	s_cmpk_gt_u32 s29, 0x400
	s_cselect_b64 s[6:7], -1, 0
	s_and_b32 s8, s29, 31
	s_cmp_lg_u32 s8, 0
	s_cselect_b64 s[8:9], -1, 0
	s_or_b64 s[8:9], s[6:7], s[8:9]
	s_mov_b64 s[6:7], -1
	s_mov_b64 s[48:49], 0
	s_and_b64 vcc, exec, s[8:9]
	s_mov_b64 s[8:9], 0
	s_cbranch_vccnz .LBB23_33
; %bb.23:
	s_andn2_b64 vcc, exec, s[6:7]
	s_cbranch_vccz .LBB23_34
.LBB23_24:
	s_and_b64 vcc, exec, s[48:49]
	s_cbranch_vccz .LBB23_31
.LBB23_25:
	s_andn2_b64 vcc, exec, s[44:45]
	s_cbranch_vccnz .LBB23_39
; %bb.26:
	s_mul_hi_i32 s7, s52, s34
	s_mul_i32 s6, s52, s34
	s_lshl_b64 s[6:7], s[6:7], 2
	s_add_u32 s6, s42, s6
	v_lshlrev_b32_e32 v1, 2, v0
	s_addc_u32 s7, s43, s7
	v_mov_b32_e32 v2, s7
	v_add_co_u32_e32 v1, vcc, s6, v1
	s_mov_b32 s14, 0
	v_mov_b32_e32 v3, 0
	v_addc_co_u32_e32 v2, vcc, 0, v2, vcc
	s_lshl_b32 s15, s29, 2
	s_mov_b64 s[10:11], 0
	s_mov_b32 s16, 0x3fb8aa3b
	s_mov_b32 s17, 0xc2ce8ed0
	;; [unrolled: 1-line block ×3, first 2 shown]
	v_mov_b32_e32 v4, 0x7f800000
	s_branch .LBB23_28
.LBB23_27:                              ;   in Loop: Header=BB23_28 Depth=1
	s_or_b64 exec, exec, s[12:13]
	s_add_i32 s14, s14, s29
	s_cmp_ge_i32 s14, s28
	s_cselect_b64 s[6:7], -1, 0
	s_xor_b64 s[12:13], vcc, -1
	s_or_b64 s[6:7], s[12:13], s[6:7]
	s_and_b64 s[6:7], exec, s[6:7]
	v_add_co_u32_e32 v1, vcc, s15, v1
	s_or_b64 s[10:11], s[6:7], s[10:11]
	v_addc_co_u32_e32 v2, vcc, 0, v2, vcc
	s_andn2_b64 exec, exec, s[10:11]
	s_cbranch_execz .LBB23_32
.LBB23_28:                              ; =>This Inner Loop Header: Depth=1
	v_add_u32_e32 v5, s14, v0
	v_cmp_gt_i32_e32 vcc, s28, v5
	s_and_saveexec_b64 s[12:13], vcc
	s_cbranch_execz .LBB23_27
; %bb.29:                               ;   in Loop: Header=BB23_28 Depth=1
	global_load_dword v5, v[1:2], off
	s_waitcnt vmcnt(0)
	v_sub_f32_e32 v5, v5, v46
	v_mul_f32_e32 v6, 0x3fb8aa3b, v5
	v_fma_f32 v7, v5, s16, -v6
	v_rndne_f32_e32 v8, v6
	v_fmac_f32_e32 v7, 0x32a5705f, v5
	v_sub_f32_e32 v6, v6, v8
	v_add_f32_e32 v6, v6, v7
	v_cvt_i32_f32_e32 v8, v8
	v_exp_f32_e32 v6, v6
	v_cmp_ngt_f32_e64 s[6:7], s17, v5
	v_ldexp_f32 v6, v6, v8
	v_cndmask_b32_e64 v6, 0, v6, s[6:7]
	v_cmp_nlt_f32_e64 s[6:7], s18, v5
	v_cndmask_b32_e64 v5, v4, v6, s[6:7]
	v_add_f32_e32 v3, v3, v5
	global_store_dword v[1:2], v5, off
	s_branch .LBB23_27
.LBB23_30:
	s_mov_b64 s[8:9], 0
	s_and_b64 vcc, exec, s[48:49]
	s_cbranch_vccnz .LBB23_25
.LBB23_31:
                                        ; implicit-def: $vgpr3
	s_mov_b64 s[6:7], 0
	s_and_b64 vcc, exec, s[8:9]
	s_cbranch_vccnz .LBB23_44
	s_branch .LBB23_45
.LBB23_32:
	s_or_b64 exec, exec, s[10:11]
	s_branch .LBB23_40
.LBB23_33:
	s_add_u32 s8, s4, 0xa0
	s_addc_u32 s9, s5, 0
	s_getpc_b64 s[6:7]
	s_add_u32 s6, s6, .str.2@rel32@lo+4
	s_addc_u32 s7, s7, .str.2@rel32@hi+12
	s_getpc_b64 s[10:11]
	s_add_u32 s10, s10, .str.3@rel32@lo+4
	s_addc_u32 s11, s11, .str.3@rel32@hi+12
	s_getpc_b64 s[12:13]
	s_add_u32 s12, s12, __PRETTY_FUNCTION__._ZL12block_reduceIL19block_reduce_method0ELj0EfET1_S1_PS1_@rel32@lo+4
	s_addc_u32 s13, s13, __PRETTY_FUNCTION__._ZL12block_reduceIL19block_reduce_method0ELj0EfET1_S1_PS1_@rel32@hi+12
	s_getpc_b64 s[14:15]
	s_add_u32 s14, s14, __assert_fail@rel32@lo+4
	s_addc_u32 s15, s15, __assert_fail@rel32@hi+12
	v_mov_b32_e32 v47, v0
	v_mov_b32_e32 v0, s6
	v_mov_b32_e32 v1, s7
	v_mov_b32_e32 v2, s10
	v_mov_b32_e32 v3, s11
	v_mov_b32_e32 v4, 0x271
	v_mov_b32_e32 v5, s12
	v_mov_b32_e32 v6, s13
	s_mov_b64 s[50:51], s[4:5]
	s_swappc_b64 s[30:31], s[14:15]
	v_mov_b32_e32 v0, v47
	s_mov_b64 s[4:5], s[50:51]
	s_mov_b64 s[8:9], -1
	s_cbranch_execnz .LBB23_24
.LBB23_34:
	v_and_b32_e32 v1, 31, v0
	v_cmp_eq_u32_e32 vcc, 0, v1
	s_and_saveexec_b64 s[6:7], vcc
; %bb.35:
	v_lshrrev_b32_e32 v2, 3, v0
	v_add_u32_e32 v2, 0, v2
	ds_write_b32 v2, v46
; %bb.36:
	s_or_b64 exec, exec, s[6:7]
	s_lshr_b32 s6, s29, 5
	v_cmp_gt_u32_e32 vcc, s6, v1
	v_mov_b32_e32 v2, 0xff800000
	s_waitcnt vmcnt(0) lgkmcnt(0)
	s_barrier
	s_and_saveexec_b64 s[6:7], vcc
; %bb.37:
	v_lshl_add_u32 v1, v1, 2, 0
	ds_read_b32 v2, v1
; %bb.38:
	s_or_b64 exec, exec, s[6:7]
	s_waitcnt lgkmcnt(0)
	ds_bpermute_b32 v1, v41, v2
	v_max_f32_e32 v2, v2, v2
	s_waitcnt lgkmcnt(0)
	v_max_f32_e32 v1, v1, v1
	v_max_f32_e32 v1, v2, v1
	ds_bpermute_b32 v2, v42, v1
	s_waitcnt lgkmcnt(0)
	v_max_f32_e32 v2, v2, v2
	v_max_f32_e32 v1, v1, v2
	ds_bpermute_b32 v2, v43, v1
	;; [unrolled: 4-line block ×4, first 2 shown]
	s_waitcnt lgkmcnt(0)
	v_max_f32_e32 v2, v2, v2
	v_max_f32_e32 v46, v1, v2
	s_cbranch_execnz .LBB23_25
	s_branch .LBB23_31
.LBB23_39:
	v_mov_b32_e32 v3, 0
.LBB23_40:
	ds_bpermute_b32 v1, v41, v3
	s_andn2_b64 vcc, exec, s[36:37]
	s_waitcnt lgkmcnt(0)
	v_add_f32_e32 v1, v3, v1
	ds_bpermute_b32 v2, v42, v1
	s_waitcnt lgkmcnt(0)
	v_add_f32_e32 v1, v1, v2
	ds_bpermute_b32 v2, v43, v1
	;; [unrolled: 3-line block ×4, first 2 shown]
	s_cbranch_vccnz .LBB23_43
; %bb.41:
	s_cmpk_gt_u32 s29, 0x400
	s_cselect_b64 s[6:7], -1, 0
	s_and_b32 s10, s29, 31
	s_cmp_lg_u32 s10, 0
	s_cselect_b64 s[10:11], -1, 0
	s_or_b64 s[10:11], s[6:7], s[10:11]
	s_mov_b64 s[6:7], -1
	s_and_b64 vcc, exec, s[10:11]
	s_cbranch_vccz .LBB23_60
; %bb.42:
	s_add_u32 s8, s4, 0xa0
	s_addc_u32 s9, s5, 0
	s_getpc_b64 s[4:5]
	s_add_u32 s4, s4, .str.2@rel32@lo+4
	s_addc_u32 s5, s5, .str.2@rel32@hi+12
	s_getpc_b64 s[6:7]
	s_add_u32 s6, s6, .str.3@rel32@lo+4
	s_addc_u32 s7, s7, .str.3@rel32@hi+12
	s_getpc_b64 s[10:11]
	s_add_u32 s10, s10, __PRETTY_FUNCTION__._ZL12block_reduceIL19block_reduce_method1ELj0EfET1_S1_PS1_@rel32@lo+4
	s_addc_u32 s11, s11, __PRETTY_FUNCTION__._ZL12block_reduceIL19block_reduce_method1ELj0EfET1_S1_PS1_@rel32@hi+12
	s_getpc_b64 s[12:13]
	s_add_u32 s12, s12, __assert_fail@rel32@lo+4
	s_addc_u32 s13, s13, __assert_fail@rel32@hi+12
	v_mov_b32_e32 v54, v0
	v_mov_b32_e32 v0, s4
	;; [unrolled: 1-line block ×8, first 2 shown]
	s_swappc_b64 s[30:31], s[12:13]
	v_mov_b32_e32 v0, v54
	s_mov_b64 s[6:7], 0
	s_mov_b64 s[38:39], 0
	v_add_f32_e32 v3, v47, v53
	s_cbranch_execnz .LBB23_44
	s_branch .LBB23_45
.LBB23_43:
	s_mov_b64 s[6:7], 0
	s_mov_b64 s[38:39], -1
	s_waitcnt lgkmcnt(0)
	v_add_f32_e32 v3, v47, v53
	s_and_b64 vcc, exec, s[8:9]
	s_cbranch_vccz .LBB23_45
.LBB23_44:
	; divergent unreachable
.LBB23_45:
	s_andn2_b64 vcc, exec, s[6:7]
	s_cbranch_vccz .LBB23_47
; %bb.46:
	s_and_b64 vcc, exec, s[38:39]
	s_cbranch_vccnz .LBB23_52
	s_branch .LBB23_59
.LBB23_47:
	v_and_b32_e32 v1, 31, v0
	v_cmp_eq_u32_e32 vcc, 0, v1
	s_and_saveexec_b64 s[4:5], vcc
; %bb.48:
	v_lshrrev_b32_e32 v2, 3, v0
	v_add_u32_e32 v2, 0, v2
	ds_write_b32 v2, v3
; %bb.49:
	s_or_b64 exec, exec, s[4:5]
	s_lshr_b32 s4, s29, 5
	v_cmp_gt_u32_e32 vcc, s4, v1
	v_mov_b32_e32 v2, 0
	s_waitcnt vmcnt(0) lgkmcnt(0)
	s_barrier
	s_and_saveexec_b64 s[4:5], vcc
; %bb.50:
	v_lshl_add_u32 v1, v1, 2, 0
	ds_read_b32 v2, v1
; %bb.51:
	s_or_b64 exec, exec, s[4:5]
	s_waitcnt lgkmcnt(0)
	ds_bpermute_b32 v1, v41, v2
	s_waitcnt lgkmcnt(0)
	v_add_f32_e32 v1, v2, v1
	ds_bpermute_b32 v2, v42, v1
	s_waitcnt lgkmcnt(0)
	v_add_f32_e32 v1, v1, v2
	;; [unrolled: 3-line block ×5, first 2 shown]
	s_cbranch_execz .LBB23_59
.LBB23_52:
	s_andn2_b64 vcc, exec, s[46:47]
	s_cbranch_vccnz .LBB23_54
; %bb.53:
	s_lshl_b64 s[4:5], s[26:27], 2
	s_add_u32 s4, s40, s4
	s_addc_u32 s5, s41, s5
	v_mov_b32_e32 v1, 0
	global_load_dword v1, v1, s[4:5]
	s_mov_b32 s4, 0x3fb8aa3b
	s_mov_b32 s5, 0x42b17218
	s_waitcnt vmcnt(0)
	v_sub_f32_e32 v1, v1, v46
	v_mul_f32_e32 v2, 0x3fb8aa3b, v1
	v_fma_f32 v4, v1, s4, -v2
	v_rndne_f32_e32 v5, v2
	v_fmac_f32_e32 v4, 0x32a5705f, v1
	v_sub_f32_e32 v2, v2, v5
	v_add_f32_e32 v2, v2, v4
	v_cvt_i32_f32_e32 v5, v5
	v_exp_f32_e32 v2, v2
	s_mov_b32 s4, 0xc2ce8ed0
	v_cmp_ngt_f32_e32 vcc, s4, v1
	v_mov_b32_e32 v4, 0x7f800000
	v_ldexp_f32 v2, v2, v5
	v_cndmask_b32_e32 v2, 0, v2, vcc
	v_cmp_nlt_f32_e32 vcc, s5, v1
	v_cndmask_b32_e32 v1, v4, v2, vcc
	v_add_f32_e32 v3, v3, v1
.LBB23_54:
	s_andn2_b64 vcc, exec, s[44:45]
	s_cbranch_vccnz .LBB23_59
; %bb.55:
	v_div_scale_f32 v1, s[4:5], v3, v3, 1.0
	v_div_scale_f32 v2, vcc, 1.0, v3, 1.0
	s_mul_hi_i32 s5, s52, s34
	s_mul_i32 s4, s52, s34
	s_lshl_b64 s[4:5], s[4:5], 2
	s_add_u32 s4, s42, s4
	s_addc_u32 s5, s43, s5
	s_mov_b32 s10, 0
	s_lshl_b32 s11, s29, 2
                                        ; implicit-def: $sgpr6_sgpr7
	v_rcp_f32_e32 v4, v1
	v_fma_f32 v5, -v1, v4, 1.0
	v_fmac_f32_e32 v4, v5, v4
	v_mul_f32_e32 v5, v2, v4
	v_fma_f32 v6, -v1, v5, v2
	v_fmac_f32_e32 v5, v6, v4
	v_fma_f32 v1, -v1, v5, v2
	v_div_fmas_f32 v4, v1, v4, v5
	v_lshlrev_b32_e32 v1, 2, v0
	v_mov_b32_e32 v2, s5
	v_add_co_u32_e32 v1, vcc, s4, v1
	v_addc_co_u32_e32 v2, vcc, 0, v2, vcc
	s_mov_b64 s[4:5], 0
	v_div_fixup_f32 v3, v4, v3, 1.0
	s_branch .LBB23_57
.LBB23_56:                              ;   in Loop: Header=BB23_57 Depth=1
	s_or_b64 exec, exec, s[8:9]
	s_and_b64 s[8:9], exec, s[6:7]
	s_or_b64 s[4:5], s[8:9], s[4:5]
	s_andn2_b64 exec, exec, s[4:5]
	s_cbranch_execz .LBB23_59
.LBB23_57:                              ; =>This Inner Loop Header: Depth=1
	v_add_u32_e32 v4, s10, v0
	v_cmp_gt_i32_e32 vcc, s28, v4
	s_or_b64 s[6:7], s[6:7], exec
	s_and_saveexec_b64 s[8:9], vcc
	s_cbranch_execz .LBB23_56
; %bb.58:                               ;   in Loop: Header=BB23_57 Depth=1
	global_load_dword v4, v[1:2], off
	s_add_i32 s10, s10, s29
	s_cmp_ge_i32 s10, s28
	s_cselect_b64 s[12:13], -1, 0
	s_andn2_b64 s[6:7], s[6:7], exec
	s_and_b64 s[12:13], s[12:13], exec
	s_or_b64 s[6:7], s[6:7], s[12:13]
	s_waitcnt vmcnt(0)
	v_mul_f32_e32 v4, v3, v4
	global_store_dword v[1:2], v4, off
	v_add_co_u32_e32 v1, vcc, s11, v1
	v_addc_co_u32_e32 v2, vcc, 0, v2, vcc
	s_branch .LBB23_56
.LBB23_59:
	s_endpgm
.LBB23_60:
	s_mov_b64 s[38:39], 0
	s_waitcnt lgkmcnt(0)
	v_add_f32_e32 v3, v47, v53
	s_and_b64 vcc, exec, s[8:9]
	s_cbranch_vccnz .LBB23_44
	s_branch .LBB23_45
	.section	.rodata,"a",@progbits
	.p2align	6, 0x0
	.amdhsa_kernel _ZL12soft_max_f32ILb0ELi0ELi0EfEvPKfPKT2_S1_Pf15soft_max_params
		.amdhsa_group_segment_fixed_size 0
		.amdhsa_private_segment_fixed_size 64
		.amdhsa_kernarg_size 416
		.amdhsa_user_sgpr_count 8
		.amdhsa_user_sgpr_private_segment_buffer 1
		.amdhsa_user_sgpr_dispatch_ptr 0
		.amdhsa_user_sgpr_queue_ptr 0
		.amdhsa_user_sgpr_kernarg_segment_ptr 1
		.amdhsa_user_sgpr_dispatch_id 0
		.amdhsa_user_sgpr_flat_scratch_init 1
		.amdhsa_user_sgpr_private_segment_size 0
		.amdhsa_uses_dynamic_stack 0
		.amdhsa_system_sgpr_private_segment_wavefront_offset 1
		.amdhsa_system_sgpr_workgroup_id_x 1
		.amdhsa_system_sgpr_workgroup_id_y 1
		.amdhsa_system_sgpr_workgroup_id_z 1
		.amdhsa_system_sgpr_workgroup_info 0
		.amdhsa_system_vgpr_workitem_id 0
		.amdhsa_next_free_vgpr 55
		.amdhsa_next_free_sgpr 53
		.amdhsa_reserve_vcc 1
		.amdhsa_reserve_flat_scratch 1
		.amdhsa_float_round_mode_32 0
		.amdhsa_float_round_mode_16_64 0
		.amdhsa_float_denorm_mode_32 3
		.amdhsa_float_denorm_mode_16_64 3
		.amdhsa_dx10_clamp 1
		.amdhsa_ieee_mode 1
		.amdhsa_fp16_overflow 0
		.amdhsa_exception_fp_ieee_invalid_op 0
		.amdhsa_exception_fp_denorm_src 0
		.amdhsa_exception_fp_ieee_div_zero 0
		.amdhsa_exception_fp_ieee_overflow 0
		.amdhsa_exception_fp_ieee_underflow 0
		.amdhsa_exception_fp_ieee_inexact 0
		.amdhsa_exception_int_div_zero 0
	.end_amdhsa_kernel
	.section	.text._ZL12soft_max_f32ILb0ELi0ELi0EfEvPKfPKT2_S1_Pf15soft_max_params,"axG",@progbits,_ZL12soft_max_f32ILb0ELi0ELi0EfEvPKfPKT2_S1_Pf15soft_max_params,comdat
.Lfunc_end23:
	.size	_ZL12soft_max_f32ILb0ELi0ELi0EfEvPKfPKT2_S1_Pf15soft_max_params, .Lfunc_end23-_ZL12soft_max_f32ILb0ELi0ELi0EfEvPKfPKT2_S1_Pf15soft_max_params
                                        ; -- End function
	.set _ZL12soft_max_f32ILb0ELi0ELi0EfEvPKfPKT2_S1_Pf15soft_max_params.num_vgpr, max(55, .L__assert_fail.num_vgpr)
	.set _ZL12soft_max_f32ILb0ELi0ELi0EfEvPKfPKT2_S1_Pf15soft_max_params.num_agpr, max(0, .L__assert_fail.num_agpr)
	.set _ZL12soft_max_f32ILb0ELi0ELi0EfEvPKfPKT2_S1_Pf15soft_max_params.numbered_sgpr, max(53, .L__assert_fail.numbered_sgpr)
	.set _ZL12soft_max_f32ILb0ELi0ELi0EfEvPKfPKT2_S1_Pf15soft_max_params.num_named_barrier, max(0, .L__assert_fail.num_named_barrier)
	.set _ZL12soft_max_f32ILb0ELi0ELi0EfEvPKfPKT2_S1_Pf15soft_max_params.private_seg_size, 0+max(.L__assert_fail.private_seg_size)
	.set _ZL12soft_max_f32ILb0ELi0ELi0EfEvPKfPKT2_S1_Pf15soft_max_params.uses_vcc, or(1, .L__assert_fail.uses_vcc)
	.set _ZL12soft_max_f32ILb0ELi0ELi0EfEvPKfPKT2_S1_Pf15soft_max_params.uses_flat_scratch, or(1, .L__assert_fail.uses_flat_scratch)
	.set _ZL12soft_max_f32ILb0ELi0ELi0EfEvPKfPKT2_S1_Pf15soft_max_params.has_dyn_sized_stack, or(0, .L__assert_fail.has_dyn_sized_stack)
	.set _ZL12soft_max_f32ILb0ELi0ELi0EfEvPKfPKT2_S1_Pf15soft_max_params.has_recursion, or(0, .L__assert_fail.has_recursion)
	.set _ZL12soft_max_f32ILb0ELi0ELi0EfEvPKfPKT2_S1_Pf15soft_max_params.has_indirect_call, or(0, .L__assert_fail.has_indirect_call)
	.section	.AMDGPU.csdata,"",@progbits
; Kernel info:
; codeLenInByte = 4648
; TotalNumSgprs: 59
; NumVgprs: 55
; ScratchSize: 64
; MemoryBound: 0
; FloatMode: 240
; IeeeMode: 1
; LDSByteSize: 0 bytes/workgroup (compile time only)
; SGPRBlocks: 7
; VGPRBlocks: 13
; NumSGPRsForWavesPerEU: 59
; NumVGPRsForWavesPerEU: 55
; Occupancy: 4
; WaveLimiterHint : 1
; COMPUTE_PGM_RSRC2:SCRATCH_EN: 1
; COMPUTE_PGM_RSRC2:USER_SGPR: 8
; COMPUTE_PGM_RSRC2:TRAP_HANDLER: 0
; COMPUTE_PGM_RSRC2:TGID_X_EN: 1
; COMPUTE_PGM_RSRC2:TGID_Y_EN: 1
; COMPUTE_PGM_RSRC2:TGID_Z_EN: 1
; COMPUTE_PGM_RSRC2:TIDIG_COMP_CNT: 0
	.section	.AMDGPU.gpr_maximums,"",@progbits
	.set amdgpu.max_num_vgpr, 53
	.set amdgpu.max_num_agpr, 0
	.set amdgpu.max_num_sgpr, 34
	.section	.AMDGPU.csdata,"",@progbits
	.type	__const.__assert_fail.fmt,@object ; @__const.__assert_fail.fmt
	.section	.rodata.str1.16,"aMS",@progbits,1
	.p2align	4, 0x0
__const.__assert_fail.fmt:
	.asciz	"%s:%u: %s: Device-side assertion `%s' failed.\n"
	.size	__const.__assert_fail.fmt, 47

	.type	.str,@object                    ; @.str
	.section	.rodata.str1.1,"aMS",@progbits,1
.str:
	.asciz	"gridDim.x < blockDim.x"
	.size	.str, 23

	.type	.str.1,@object                  ; @.str.1
.str.1:
	.asciz	"/root/src/amdgpu-assembly/repos/ggml-org__llama.cpp/ggml/src/ggml-cuda/softmax.cu"
	.size	.str.1, 82

	.type	__PRETTY_FUNCTION__._ZL40soft_max_f32_parallelize_cols_single_rowPKfPfS1_S1_15soft_max_params,@object ; @__PRETTY_FUNCTION__._ZL40soft_max_f32_parallelize_cols_single_rowPKfPfS1_S1_15soft_max_params
__PRETTY_FUNCTION__._ZL40soft_max_f32_parallelize_cols_single_rowPKfPfS1_S1_15soft_max_params:
	.asciz	"void soft_max_f32_parallelize_cols_single_row(const float *__restrict, float *__restrict, float *__restrict, float *__restrict, const soft_max_params)"
	.size	__PRETTY_FUNCTION__._ZL40soft_max_f32_parallelize_cols_single_rowPKfPfS1_S1_15soft_max_params, 151

	.type	.str.2,@object                  ; @.str.2
.str.2:
	.asciz	"(block_size <= 1024) && (block_size % WARP_SIZE) == 0"
	.size	.str.2, 54

	.type	.str.3,@object                  ; @.str.3
.str.3:
	.asciz	"/root/src/amdgpu-assembly/repos/ggml-org__llama.cpp/ggml/src/ggml-cuda/common.cuh"
	.size	.str.3, 82

	.type	__PRETTY_FUNCTION__._ZL12block_reduceIL19block_reduce_method0ELj0EfET1_S1_PS1_,@object ; @__PRETTY_FUNCTION__._ZL12block_reduceIL19block_reduce_method0ELj0EfET1_S1_PS1_
__PRETTY_FUNCTION__._ZL12block_reduceIL19block_reduce_method0ELj0EfET1_S1_PS1_:
	.asciz	"T block_reduce(T, T *) [reduce_method_t = block_reduce_method::MAX, block_size_template = 0U, T = float]"
	.size	__PRETTY_FUNCTION__._ZL12block_reduceIL19block_reduce_method0ELj0EfET1_S1_PS1_, 105

	.type	__PRETTY_FUNCTION__._ZL12block_reduceIL19block_reduce_method1ELj0EfET1_S1_PS1_,@object ; @__PRETTY_FUNCTION__._ZL12block_reduceIL19block_reduce_method1ELj0EfET1_S1_PS1_
__PRETTY_FUNCTION__._ZL12block_reduceIL19block_reduce_method1ELj0EfET1_S1_PS1_:
	.asciz	"T block_reduce(T, T *) [reduce_method_t = block_reduce_method::SUM, block_size_template = 0U, T = float]"
	.size	__PRETTY_FUNCTION__._ZL12block_reduceIL19block_reduce_method1ELj0EfET1_S1_PS1_, 105

	.type	__hip_cuid_92897b43c22ac696,@object ; @__hip_cuid_92897b43c22ac696
	.section	.bss,"aw",@nobits
	.globl	__hip_cuid_92897b43c22ac696
__hip_cuid_92897b43c22ac696:
	.byte	0                               ; 0x0
	.size	__hip_cuid_92897b43c22ac696, 1

	.ident	"AMD clang version 22.0.0git (https://github.com/RadeonOpenCompute/llvm-project roc-7.2.4 26084 f58b06dce1f9c15707c5f808fd002e18c2accf7e)"
	.section	".note.GNU-stack","",@progbits
	.addrsig
	.addrsig_sym __hip_cuid_92897b43c22ac696
	.amdgpu_metadata
---
amdhsa.kernels:
  - .args:
      - .address_space:  global
        .offset:         0
        .size:           8
        .value_kind:     global_buffer
      - .address_space:  global
        .offset:         8
        .size:           8
        .value_kind:     global_buffer
      - .address_space:  global
        .offset:         16
        .size:           8
        .value_kind:     global_buffer
      - .offset:         24
        .size:           4
        .value_kind:     by_value
      - .offset:         28
        .size:           4
        .value_kind:     by_value
    .group_segment_fixed_size: 0
    .kernarg_segment_align: 8
    .kernarg_segment_size: 32
    .language:       OpenCL C
    .language_version:
      - 2
      - 0
    .max_flat_workgroup_size: 1024
    .name:           _ZL17soft_max_back_f32PKfS0_Pfif
    .private_segment_fixed_size: 0
    .sgpr_count:     22
    .sgpr_spill_count: 0
    .symbol:         _ZL17soft_max_back_f32PKfS0_Pfif.kd
    .uniform_work_group_size: 1
    .uses_dynamic_stack: false
    .vgpr_count:     10
    .vgpr_spill_count: 0
    .wavefront_size: 64
  - .args:
      - .actual_access:  read_only
        .address_space:  global
        .offset:         0
        .size:           8
        .value_kind:     global_buffer
      - .address_space:  global
        .offset:         8
        .size:           8
        .value_kind:     global_buffer
      - .address_space:  global
        .offset:         16
        .size:           8
        .value_kind:     global_buffer
      - .address_space:  global
        .offset:         24
        .size:           8
        .value_kind:     global_buffer
      - .offset:         32
        .size:           128
        .value_kind:     by_value
      - .offset:         160
        .size:           4
        .value_kind:     hidden_block_count_x
      - .offset:         164
        .size:           4
        .value_kind:     hidden_block_count_y
      - .offset:         168
        .size:           4
        .value_kind:     hidden_block_count_z
      - .offset:         172
        .size:           2
        .value_kind:     hidden_group_size_x
      - .offset:         174
        .size:           2
        .value_kind:     hidden_group_size_y
      - .offset:         176
        .size:           2
        .value_kind:     hidden_group_size_z
      - .offset:         178
        .size:           2
        .value_kind:     hidden_remainder_x
      - .offset:         180
        .size:           2
        .value_kind:     hidden_remainder_y
      - .offset:         182
        .size:           2
        .value_kind:     hidden_remainder_z
      - .offset:         200
        .size:           8
        .value_kind:     hidden_global_offset_x
      - .offset:         208
        .size:           8
        .value_kind:     hidden_global_offset_y
      - .offset:         216
        .size:           8
        .value_kind:     hidden_global_offset_z
      - .offset:         224
        .size:           2
        .value_kind:     hidden_grid_dims
      - .offset:         240
        .size:           8
        .value_kind:     hidden_hostcall_buffer
    .group_segment_fixed_size: 128
    .kernarg_segment_align: 8
    .kernarg_segment_size: 416
    .language:       OpenCL C
    .language_version:
      - 2
      - 0
    .max_flat_workgroup_size: 256
    .name:           _ZL29soft_max_f32_parallelize_colsPKfPfS1_S1_15soft_max_params
    .private_segment_fixed_size: 64
    .sgpr_count:     77
    .sgpr_spill_count: 0
    .symbol:         _ZL29soft_max_f32_parallelize_colsPKfPfS1_S1_15soft_max_params.kd
    .uniform_work_group_size: 1
    .uses_dynamic_stack: false
    .vgpr_count:     53
    .vgpr_spill_count: 0
    .wavefront_size: 64
  - .args:
      - .address_space:  global
        .offset:         0
        .size:           8
        .value_kind:     global_buffer
      - .address_space:  global
        .offset:         8
        .size:           8
        .value_kind:     global_buffer
      - .address_space:  global
        .offset:         16
        .size:           8
        .value_kind:     global_buffer
      - .address_space:  global
        .offset:         24
        .size:           8
        .value_kind:     global_buffer
      - .offset:         32
        .size:           128
        .value_kind:     by_value
      - .offset:         160
        .size:           4
        .value_kind:     hidden_block_count_x
      - .offset:         164
        .size:           4
        .value_kind:     hidden_block_count_y
      - .offset:         168
        .size:           4
        .value_kind:     hidden_block_count_z
      - .offset:         172
        .size:           2
        .value_kind:     hidden_group_size_x
      - .offset:         174
        .size:           2
        .value_kind:     hidden_group_size_y
      - .offset:         176
        .size:           2
        .value_kind:     hidden_group_size_z
      - .offset:         178
        .size:           2
        .value_kind:     hidden_remainder_x
      - .offset:         180
        .size:           2
        .value_kind:     hidden_remainder_y
      - .offset:         182
        .size:           2
        .value_kind:     hidden_remainder_z
      - .offset:         200
        .size:           8
        .value_kind:     hidden_global_offset_x
      - .offset:         208
        .size:           8
        .value_kind:     hidden_global_offset_y
      - .offset:         216
        .size:           8
        .value_kind:     hidden_global_offset_z
      - .offset:         224
        .size:           2
        .value_kind:     hidden_grid_dims
      - .offset:         280
        .size:           4
        .value_kind:     hidden_dynamic_lds_size
    .group_segment_fixed_size: 0
    .kernarg_segment_align: 8
    .kernarg_segment_size: 416
    .language:       OpenCL C
    .language_version:
      - 2
      - 0
    .max_flat_workgroup_size: 1024
    .name:           _ZL12soft_max_f32ILb1ELi4096ELi1024E6__halfEvPKfPKT2_S2_Pf15soft_max_params
    .private_segment_fixed_size: 0
    .sgpr_count:     40
    .sgpr_spill_count: 0
    .symbol:         _ZL12soft_max_f32ILb1ELi4096ELi1024E6__halfEvPKfPKT2_S2_Pf15soft_max_params.kd
    .uniform_work_group_size: 1
    .uses_dynamic_stack: false
    .vgpr_count:     24
    .vgpr_spill_count: 0
    .wavefront_size: 64
  - .args:
      - .address_space:  global
        .offset:         0
        .size:           8
        .value_kind:     global_buffer
      - .address_space:  global
        .offset:         8
        .size:           8
        .value_kind:     global_buffer
      - .address_space:  global
        .offset:         16
        .size:           8
        .value_kind:     global_buffer
      - .address_space:  global
        .offset:         24
        .size:           8
        .value_kind:     global_buffer
      - .offset:         32
        .size:           128
        .value_kind:     by_value
      - .offset:         160
        .size:           4
        .value_kind:     hidden_block_count_x
      - .offset:         164
        .size:           4
        .value_kind:     hidden_block_count_y
      - .offset:         168
        .size:           4
        .value_kind:     hidden_block_count_z
      - .offset:         172
        .size:           2
        .value_kind:     hidden_group_size_x
      - .offset:         174
        .size:           2
        .value_kind:     hidden_group_size_y
      - .offset:         176
        .size:           2
        .value_kind:     hidden_group_size_z
      - .offset:         178
        .size:           2
        .value_kind:     hidden_remainder_x
      - .offset:         180
        .size:           2
        .value_kind:     hidden_remainder_y
      - .offset:         182
        .size:           2
        .value_kind:     hidden_remainder_z
      - .offset:         200
        .size:           8
        .value_kind:     hidden_global_offset_x
      - .offset:         208
        .size:           8
        .value_kind:     hidden_global_offset_y
      - .offset:         216
        .size:           8
        .value_kind:     hidden_global_offset_z
      - .offset:         224
        .size:           2
        .value_kind:     hidden_grid_dims
      - .offset:         280
        .size:           4
        .value_kind:     hidden_dynamic_lds_size
    .group_segment_fixed_size: 0
    .kernarg_segment_align: 8
    .kernarg_segment_size: 416
    .language:       OpenCL C
    .language_version:
      - 2
      - 0
    .max_flat_workgroup_size: 1024
    .name:           _ZL12soft_max_f32ILb1ELi2048ELi1024E6__halfEvPKfPKT2_S2_Pf15soft_max_params
    .private_segment_fixed_size: 0
    .sgpr_count:     40
    .sgpr_spill_count: 0
    .symbol:         _ZL12soft_max_f32ILb1ELi2048ELi1024E6__halfEvPKfPKT2_S2_Pf15soft_max_params.kd
    .uniform_work_group_size: 1
    .uses_dynamic_stack: false
    .vgpr_count:     20
    .vgpr_spill_count: 0
    .wavefront_size: 64
  - .args:
      - .address_space:  global
        .offset:         0
        .size:           8
        .value_kind:     global_buffer
      - .address_space:  global
        .offset:         8
        .size:           8
        .value_kind:     global_buffer
      - .address_space:  global
        .offset:         16
        .size:           8
        .value_kind:     global_buffer
      - .address_space:  global
        .offset:         24
        .size:           8
        .value_kind:     global_buffer
      - .offset:         32
        .size:           128
        .value_kind:     by_value
      - .offset:         160
        .size:           4
        .value_kind:     hidden_block_count_x
      - .offset:         164
        .size:           4
        .value_kind:     hidden_block_count_y
      - .offset:         168
        .size:           4
        .value_kind:     hidden_block_count_z
      - .offset:         172
        .size:           2
        .value_kind:     hidden_group_size_x
      - .offset:         174
        .size:           2
        .value_kind:     hidden_group_size_y
      - .offset:         176
        .size:           2
        .value_kind:     hidden_group_size_z
      - .offset:         178
        .size:           2
        .value_kind:     hidden_remainder_x
      - .offset:         180
        .size:           2
        .value_kind:     hidden_remainder_y
      - .offset:         182
        .size:           2
        .value_kind:     hidden_remainder_z
      - .offset:         200
        .size:           8
        .value_kind:     hidden_global_offset_x
      - .offset:         208
        .size:           8
        .value_kind:     hidden_global_offset_y
      - .offset:         216
        .size:           8
        .value_kind:     hidden_global_offset_z
      - .offset:         224
        .size:           2
        .value_kind:     hidden_grid_dims
      - .offset:         280
        .size:           4
        .value_kind:     hidden_dynamic_lds_size
    .group_segment_fixed_size: 0
    .kernarg_segment_align: 8
    .kernarg_segment_size: 416
    .language:       OpenCL C
    .language_version:
      - 2
      - 0
    .max_flat_workgroup_size: 1024
    .name:           _ZL12soft_max_f32ILb1ELi1024ELi1024E6__halfEvPKfPKT2_S2_Pf15soft_max_params
    .private_segment_fixed_size: 0
    .sgpr_count:     40
    .sgpr_spill_count: 0
    .symbol:         _ZL12soft_max_f32ILb1ELi1024ELi1024E6__halfEvPKfPKT2_S2_Pf15soft_max_params.kd
    .uniform_work_group_size: 1
    .uses_dynamic_stack: false
    .vgpr_count:     14
    .vgpr_spill_count: 0
    .wavefront_size: 64
  - .args:
      - .address_space:  global
        .offset:         0
        .size:           8
        .value_kind:     global_buffer
      - .address_space:  global
        .offset:         8
        .size:           8
        .value_kind:     global_buffer
      - .address_space:  global
        .offset:         16
        .size:           8
        .value_kind:     global_buffer
      - .address_space:  global
        .offset:         24
        .size:           8
        .value_kind:     global_buffer
      - .offset:         32
        .size:           128
        .value_kind:     by_value
      - .offset:         160
        .size:           4
        .value_kind:     hidden_block_count_x
      - .offset:         164
        .size:           4
        .value_kind:     hidden_block_count_y
      - .offset:         168
        .size:           4
        .value_kind:     hidden_block_count_z
      - .offset:         172
        .size:           2
        .value_kind:     hidden_group_size_x
      - .offset:         174
        .size:           2
        .value_kind:     hidden_group_size_y
      - .offset:         176
        .size:           2
        .value_kind:     hidden_group_size_z
      - .offset:         178
        .size:           2
        .value_kind:     hidden_remainder_x
      - .offset:         180
        .size:           2
        .value_kind:     hidden_remainder_y
      - .offset:         182
        .size:           2
        .value_kind:     hidden_remainder_z
      - .offset:         200
        .size:           8
        .value_kind:     hidden_global_offset_x
      - .offset:         208
        .size:           8
        .value_kind:     hidden_global_offset_y
      - .offset:         216
        .size:           8
        .value_kind:     hidden_global_offset_z
      - .offset:         224
        .size:           2
        .value_kind:     hidden_grid_dims
      - .offset:         280
        .size:           4
        .value_kind:     hidden_dynamic_lds_size
    .group_segment_fixed_size: 0
    .kernarg_segment_align: 8
    .kernarg_segment_size: 416
    .language:       OpenCL C
    .language_version:
      - 2
      - 0
    .max_flat_workgroup_size: 1024
    .name:           _ZL12soft_max_f32ILb1ELi512ELi512E6__halfEvPKfPKT2_S2_Pf15soft_max_params
    .private_segment_fixed_size: 0
    .sgpr_count:     40
    .sgpr_spill_count: 0
    .symbol:         _ZL12soft_max_f32ILb1ELi512ELi512E6__halfEvPKfPKT2_S2_Pf15soft_max_params.kd
    .uniform_work_group_size: 1
    .uses_dynamic_stack: false
    .vgpr_count:     14
    .vgpr_spill_count: 0
    .wavefront_size: 64
  - .args:
      - .address_space:  global
        .offset:         0
        .size:           8
        .value_kind:     global_buffer
      - .address_space:  global
        .offset:         8
        .size:           8
        .value_kind:     global_buffer
      - .address_space:  global
        .offset:         16
        .size:           8
        .value_kind:     global_buffer
      - .address_space:  global
        .offset:         24
        .size:           8
        .value_kind:     global_buffer
      - .offset:         32
        .size:           128
        .value_kind:     by_value
      - .offset:         160
        .size:           4
        .value_kind:     hidden_block_count_x
      - .offset:         164
        .size:           4
        .value_kind:     hidden_block_count_y
      - .offset:         168
        .size:           4
        .value_kind:     hidden_block_count_z
      - .offset:         172
        .size:           2
        .value_kind:     hidden_group_size_x
      - .offset:         174
        .size:           2
        .value_kind:     hidden_group_size_y
      - .offset:         176
        .size:           2
        .value_kind:     hidden_group_size_z
      - .offset:         178
        .size:           2
        .value_kind:     hidden_remainder_x
      - .offset:         180
        .size:           2
        .value_kind:     hidden_remainder_y
      - .offset:         182
        .size:           2
        .value_kind:     hidden_remainder_z
      - .offset:         200
        .size:           8
        .value_kind:     hidden_global_offset_x
      - .offset:         208
        .size:           8
        .value_kind:     hidden_global_offset_y
      - .offset:         216
        .size:           8
        .value_kind:     hidden_global_offset_z
      - .offset:         224
        .size:           2
        .value_kind:     hidden_grid_dims
      - .offset:         280
        .size:           4
        .value_kind:     hidden_dynamic_lds_size
    .group_segment_fixed_size: 0
    .kernarg_segment_align: 8
    .kernarg_segment_size: 416
    .language:       OpenCL C
    .language_version:
      - 2
      - 0
    .max_flat_workgroup_size: 1024
    .name:           _ZL12soft_max_f32ILb1ELi256ELi256E6__halfEvPKfPKT2_S2_Pf15soft_max_params
    .private_segment_fixed_size: 0
    .sgpr_count:     40
    .sgpr_spill_count: 0
    .symbol:         _ZL12soft_max_f32ILb1ELi256ELi256E6__halfEvPKfPKT2_S2_Pf15soft_max_params.kd
    .uniform_work_group_size: 1
    .uses_dynamic_stack: false
    .vgpr_count:     14
    .vgpr_spill_count: 0
    .wavefront_size: 64
  - .args:
      - .address_space:  global
        .offset:         0
        .size:           8
        .value_kind:     global_buffer
      - .address_space:  global
        .offset:         8
        .size:           8
        .value_kind:     global_buffer
      - .address_space:  global
        .offset:         16
        .size:           8
        .value_kind:     global_buffer
      - .address_space:  global
        .offset:         24
        .size:           8
        .value_kind:     global_buffer
      - .offset:         32
        .size:           128
        .value_kind:     by_value
      - .offset:         160
        .size:           4
        .value_kind:     hidden_block_count_x
      - .offset:         164
        .size:           4
        .value_kind:     hidden_block_count_y
      - .offset:         168
        .size:           4
        .value_kind:     hidden_block_count_z
      - .offset:         172
        .size:           2
        .value_kind:     hidden_group_size_x
      - .offset:         174
        .size:           2
        .value_kind:     hidden_group_size_y
      - .offset:         176
        .size:           2
        .value_kind:     hidden_group_size_z
      - .offset:         178
        .size:           2
        .value_kind:     hidden_remainder_x
      - .offset:         180
        .size:           2
        .value_kind:     hidden_remainder_y
      - .offset:         182
        .size:           2
        .value_kind:     hidden_remainder_z
      - .offset:         200
        .size:           8
        .value_kind:     hidden_global_offset_x
      - .offset:         208
        .size:           8
        .value_kind:     hidden_global_offset_y
      - .offset:         216
        .size:           8
        .value_kind:     hidden_global_offset_z
      - .offset:         224
        .size:           2
        .value_kind:     hidden_grid_dims
      - .offset:         280
        .size:           4
        .value_kind:     hidden_dynamic_lds_size
    .group_segment_fixed_size: 0
    .kernarg_segment_align: 8
    .kernarg_segment_size: 416
    .language:       OpenCL C
    .language_version:
      - 2
      - 0
    .max_flat_workgroup_size: 1024
    .name:           _ZL12soft_max_f32ILb1ELi128ELi128E6__halfEvPKfPKT2_S2_Pf15soft_max_params
    .private_segment_fixed_size: 0
    .sgpr_count:     40
    .sgpr_spill_count: 0
    .symbol:         _ZL12soft_max_f32ILb1ELi128ELi128E6__halfEvPKfPKT2_S2_Pf15soft_max_params.kd
    .uniform_work_group_size: 1
    .uses_dynamic_stack: false
    .vgpr_count:     14
    .vgpr_spill_count: 0
    .wavefront_size: 64
  - .args:
      - .address_space:  global
        .offset:         0
        .size:           8
        .value_kind:     global_buffer
      - .address_space:  global
        .offset:         8
        .size:           8
        .value_kind:     global_buffer
      - .address_space:  global
        .offset:         16
        .size:           8
        .value_kind:     global_buffer
      - .address_space:  global
        .offset:         24
        .size:           8
        .value_kind:     global_buffer
      - .offset:         32
        .size:           128
        .value_kind:     by_value
      - .offset:         160
        .size:           4
        .value_kind:     hidden_block_count_x
      - .offset:         164
        .size:           4
        .value_kind:     hidden_block_count_y
      - .offset:         168
        .size:           4
        .value_kind:     hidden_block_count_z
      - .offset:         172
        .size:           2
        .value_kind:     hidden_group_size_x
      - .offset:         174
        .size:           2
        .value_kind:     hidden_group_size_y
      - .offset:         176
        .size:           2
        .value_kind:     hidden_group_size_z
      - .offset:         178
        .size:           2
        .value_kind:     hidden_remainder_x
      - .offset:         180
        .size:           2
        .value_kind:     hidden_remainder_y
      - .offset:         182
        .size:           2
        .value_kind:     hidden_remainder_z
      - .offset:         200
        .size:           8
        .value_kind:     hidden_global_offset_x
      - .offset:         208
        .size:           8
        .value_kind:     hidden_global_offset_y
      - .offset:         216
        .size:           8
        .value_kind:     hidden_global_offset_z
      - .offset:         224
        .size:           2
        .value_kind:     hidden_grid_dims
      - .offset:         280
        .size:           4
        .value_kind:     hidden_dynamic_lds_size
    .group_segment_fixed_size: 0
    .kernarg_segment_align: 8
    .kernarg_segment_size: 416
    .language:       OpenCL C
    .language_version:
      - 2
      - 0
    .max_flat_workgroup_size: 1024
    .name:           _ZL12soft_max_f32ILb1ELi64ELi64E6__halfEvPKfPKT2_S2_Pf15soft_max_params
    .private_segment_fixed_size: 0
    .sgpr_count:     40
    .sgpr_spill_count: 0
    .symbol:         _ZL12soft_max_f32ILb1ELi64ELi64E6__halfEvPKfPKT2_S2_Pf15soft_max_params.kd
    .uniform_work_group_size: 1
    .uses_dynamic_stack: false
    .vgpr_count:     14
    .vgpr_spill_count: 0
    .wavefront_size: 64
  - .args:
      - .address_space:  global
        .offset:         0
        .size:           8
        .value_kind:     global_buffer
      - .address_space:  global
        .offset:         8
        .size:           8
        .value_kind:     global_buffer
      - .address_space:  global
        .offset:         16
        .size:           8
        .value_kind:     global_buffer
      - .address_space:  global
        .offset:         24
        .size:           8
        .value_kind:     global_buffer
      - .offset:         32
        .size:           128
        .value_kind:     by_value
      - .offset:         160
        .size:           4
        .value_kind:     hidden_block_count_x
      - .offset:         164
        .size:           4
        .value_kind:     hidden_block_count_y
      - .offset:         168
        .size:           4
        .value_kind:     hidden_block_count_z
      - .offset:         172
        .size:           2
        .value_kind:     hidden_group_size_x
      - .offset:         174
        .size:           2
        .value_kind:     hidden_group_size_y
      - .offset:         176
        .size:           2
        .value_kind:     hidden_group_size_z
      - .offset:         178
        .size:           2
        .value_kind:     hidden_remainder_x
      - .offset:         180
        .size:           2
        .value_kind:     hidden_remainder_y
      - .offset:         182
        .size:           2
        .value_kind:     hidden_remainder_z
      - .offset:         200
        .size:           8
        .value_kind:     hidden_global_offset_x
      - .offset:         208
        .size:           8
        .value_kind:     hidden_global_offset_y
      - .offset:         216
        .size:           8
        .value_kind:     hidden_global_offset_z
      - .offset:         224
        .size:           2
        .value_kind:     hidden_grid_dims
      - .offset:         280
        .size:           4
        .value_kind:     hidden_dynamic_lds_size
    .group_segment_fixed_size: 0
    .kernarg_segment_align: 8
    .kernarg_segment_size: 416
    .language:       OpenCL C
    .language_version:
      - 2
      - 0
    .max_flat_workgroup_size: 1024
    .name:           _ZL12soft_max_f32ILb1ELi32ELi32E6__halfEvPKfPKT2_S2_Pf15soft_max_params
    .private_segment_fixed_size: 0
    .sgpr_count:     40
    .sgpr_spill_count: 0
    .symbol:         _ZL12soft_max_f32ILb1ELi32ELi32E6__halfEvPKfPKT2_S2_Pf15soft_max_params.kd
    .uniform_work_group_size: 1
    .uses_dynamic_stack: false
    .vgpr_count:     13
    .vgpr_spill_count: 0
    .wavefront_size: 64
  - .args:
      - .address_space:  global
        .offset:         0
        .size:           8
        .value_kind:     global_buffer
      - .address_space:  global
        .offset:         8
        .size:           8
        .value_kind:     global_buffer
      - .address_space:  global
        .offset:         16
        .size:           8
        .value_kind:     global_buffer
      - .address_space:  global
        .offset:         24
        .size:           8
        .value_kind:     global_buffer
      - .offset:         32
        .size:           128
        .value_kind:     by_value
      - .offset:         160
        .size:           4
        .value_kind:     hidden_block_count_x
      - .offset:         164
        .size:           4
        .value_kind:     hidden_block_count_y
      - .offset:         168
        .size:           4
        .value_kind:     hidden_block_count_z
      - .offset:         172
        .size:           2
        .value_kind:     hidden_group_size_x
      - .offset:         174
        .size:           2
        .value_kind:     hidden_group_size_y
      - .offset:         176
        .size:           2
        .value_kind:     hidden_group_size_z
      - .offset:         178
        .size:           2
        .value_kind:     hidden_remainder_x
      - .offset:         180
        .size:           2
        .value_kind:     hidden_remainder_y
      - .offset:         182
        .size:           2
        .value_kind:     hidden_remainder_z
      - .offset:         200
        .size:           8
        .value_kind:     hidden_global_offset_x
      - .offset:         208
        .size:           8
        .value_kind:     hidden_global_offset_y
      - .offset:         216
        .size:           8
        .value_kind:     hidden_global_offset_z
      - .offset:         224
        .size:           2
        .value_kind:     hidden_grid_dims
      - .offset:         240
        .size:           8
        .value_kind:     hidden_hostcall_buffer
      - .offset:         280
        .size:           4
        .value_kind:     hidden_dynamic_lds_size
    .group_segment_fixed_size: 0
    .kernarg_segment_align: 8
    .kernarg_segment_size: 416
    .language:       OpenCL C
    .language_version:
      - 2
      - 0
    .max_flat_workgroup_size: 1024
    .name:           _ZL12soft_max_f32ILb1ELi0ELi0E6__halfEvPKfPKT2_S2_Pf15soft_max_params
    .private_segment_fixed_size: 64
    .sgpr_count:     59
    .sgpr_spill_count: 0
    .symbol:         _ZL12soft_max_f32ILb1ELi0ELi0E6__halfEvPKfPKT2_S2_Pf15soft_max_params.kd
    .uniform_work_group_size: 1
    .uses_dynamic_stack: false
    .vgpr_count:     55
    .vgpr_spill_count: 0
    .wavefront_size: 64
  - .args:
      - .address_space:  global
        .offset:         0
        .size:           8
        .value_kind:     global_buffer
      - .address_space:  global
        .offset:         8
        .size:           8
        .value_kind:     global_buffer
      - .address_space:  global
        .offset:         16
        .size:           8
        .value_kind:     global_buffer
      - .address_space:  global
        .offset:         24
        .size:           8
        .value_kind:     global_buffer
      - .offset:         32
        .size:           128
        .value_kind:     by_value
      - .offset:         160
        .size:           4
        .value_kind:     hidden_block_count_x
      - .offset:         164
        .size:           4
        .value_kind:     hidden_block_count_y
      - .offset:         168
        .size:           4
        .value_kind:     hidden_block_count_z
      - .offset:         172
        .size:           2
        .value_kind:     hidden_group_size_x
      - .offset:         174
        .size:           2
        .value_kind:     hidden_group_size_y
      - .offset:         176
        .size:           2
        .value_kind:     hidden_group_size_z
      - .offset:         178
        .size:           2
        .value_kind:     hidden_remainder_x
      - .offset:         180
        .size:           2
        .value_kind:     hidden_remainder_y
      - .offset:         182
        .size:           2
        .value_kind:     hidden_remainder_z
      - .offset:         200
        .size:           8
        .value_kind:     hidden_global_offset_x
      - .offset:         208
        .size:           8
        .value_kind:     hidden_global_offset_y
      - .offset:         216
        .size:           8
        .value_kind:     hidden_global_offset_z
      - .offset:         224
        .size:           2
        .value_kind:     hidden_grid_dims
      - .offset:         240
        .size:           8
        .value_kind:     hidden_hostcall_buffer
      - .offset:         280
        .size:           4
        .value_kind:     hidden_dynamic_lds_size
    .group_segment_fixed_size: 0
    .kernarg_segment_align: 8
    .kernarg_segment_size: 416
    .language:       OpenCL C
    .language_version:
      - 2
      - 0
    .max_flat_workgroup_size: 1024
    .name:           _ZL12soft_max_f32ILb0ELi0ELi0E6__halfEvPKfPKT2_S2_Pf15soft_max_params
    .private_segment_fixed_size: 64
    .sgpr_count:     59
    .sgpr_spill_count: 0
    .symbol:         _ZL12soft_max_f32ILb0ELi0ELi0E6__halfEvPKfPKT2_S2_Pf15soft_max_params.kd
    .uniform_work_group_size: 1
    .uses_dynamic_stack: false
    .vgpr_count:     55
    .vgpr_spill_count: 0
    .wavefront_size: 64
  - .args:
      - .address_space:  global
        .offset:         0
        .size:           8
        .value_kind:     global_buffer
      - .address_space:  global
        .offset:         8
        .size:           8
        .value_kind:     global_buffer
      - .address_space:  global
        .offset:         16
        .size:           8
        .value_kind:     global_buffer
      - .address_space:  global
        .offset:         24
        .size:           8
        .value_kind:     global_buffer
      - .offset:         32
        .size:           128
        .value_kind:     by_value
      - .offset:         160
        .size:           4
        .value_kind:     hidden_block_count_x
      - .offset:         164
        .size:           4
        .value_kind:     hidden_block_count_y
      - .offset:         168
        .size:           4
        .value_kind:     hidden_block_count_z
      - .offset:         172
        .size:           2
        .value_kind:     hidden_group_size_x
      - .offset:         174
        .size:           2
        .value_kind:     hidden_group_size_y
      - .offset:         176
        .size:           2
        .value_kind:     hidden_group_size_z
      - .offset:         178
        .size:           2
        .value_kind:     hidden_remainder_x
      - .offset:         180
        .size:           2
        .value_kind:     hidden_remainder_y
      - .offset:         182
        .size:           2
        .value_kind:     hidden_remainder_z
      - .offset:         200
        .size:           8
        .value_kind:     hidden_global_offset_x
      - .offset:         208
        .size:           8
        .value_kind:     hidden_global_offset_y
      - .offset:         216
        .size:           8
        .value_kind:     hidden_global_offset_z
      - .offset:         224
        .size:           2
        .value_kind:     hidden_grid_dims
      - .offset:         280
        .size:           4
        .value_kind:     hidden_dynamic_lds_size
    .group_segment_fixed_size: 0
    .kernarg_segment_align: 8
    .kernarg_segment_size: 416
    .language:       OpenCL C
    .language_version:
      - 2
      - 0
    .max_flat_workgroup_size: 1024
    .name:           _ZL12soft_max_f32ILb1ELi4096ELi1024EfEvPKfPKT2_S1_Pf15soft_max_params
    .private_segment_fixed_size: 0
    .sgpr_count:     40
    .sgpr_spill_count: 0
    .symbol:         _ZL12soft_max_f32ILb1ELi4096ELi1024EfEvPKfPKT2_S1_Pf15soft_max_params.kd
    .uniform_work_group_size: 1
    .uses_dynamic_stack: false
    .vgpr_count:     24
    .vgpr_spill_count: 0
    .wavefront_size: 64
  - .args:
      - .address_space:  global
        .offset:         0
        .size:           8
        .value_kind:     global_buffer
      - .address_space:  global
        .offset:         8
        .size:           8
        .value_kind:     global_buffer
      - .address_space:  global
        .offset:         16
        .size:           8
        .value_kind:     global_buffer
      - .address_space:  global
        .offset:         24
        .size:           8
        .value_kind:     global_buffer
      - .offset:         32
        .size:           128
        .value_kind:     by_value
      - .offset:         160
        .size:           4
        .value_kind:     hidden_block_count_x
      - .offset:         164
        .size:           4
        .value_kind:     hidden_block_count_y
      - .offset:         168
        .size:           4
        .value_kind:     hidden_block_count_z
      - .offset:         172
        .size:           2
        .value_kind:     hidden_group_size_x
      - .offset:         174
        .size:           2
        .value_kind:     hidden_group_size_y
      - .offset:         176
        .size:           2
        .value_kind:     hidden_group_size_z
      - .offset:         178
        .size:           2
        .value_kind:     hidden_remainder_x
      - .offset:         180
        .size:           2
        .value_kind:     hidden_remainder_y
      - .offset:         182
        .size:           2
        .value_kind:     hidden_remainder_z
      - .offset:         200
        .size:           8
        .value_kind:     hidden_global_offset_x
      - .offset:         208
        .size:           8
        .value_kind:     hidden_global_offset_y
      - .offset:         216
        .size:           8
        .value_kind:     hidden_global_offset_z
      - .offset:         224
        .size:           2
        .value_kind:     hidden_grid_dims
      - .offset:         280
        .size:           4
        .value_kind:     hidden_dynamic_lds_size
    .group_segment_fixed_size: 0
    .kernarg_segment_align: 8
    .kernarg_segment_size: 416
    .language:       OpenCL C
    .language_version:
      - 2
      - 0
    .max_flat_workgroup_size: 1024
    .name:           _ZL12soft_max_f32ILb1ELi2048ELi1024EfEvPKfPKT2_S1_Pf15soft_max_params
    .private_segment_fixed_size: 0
    .sgpr_count:     40
    .sgpr_spill_count: 0
    .symbol:         _ZL12soft_max_f32ILb1ELi2048ELi1024EfEvPKfPKT2_S1_Pf15soft_max_params.kd
    .uniform_work_group_size: 1
    .uses_dynamic_stack: false
    .vgpr_count:     20
    .vgpr_spill_count: 0
    .wavefront_size: 64
  - .args:
      - .address_space:  global
        .offset:         0
        .size:           8
        .value_kind:     global_buffer
      - .address_space:  global
        .offset:         8
        .size:           8
        .value_kind:     global_buffer
      - .address_space:  global
        .offset:         16
        .size:           8
        .value_kind:     global_buffer
      - .address_space:  global
        .offset:         24
        .size:           8
        .value_kind:     global_buffer
      - .offset:         32
        .size:           128
        .value_kind:     by_value
      - .offset:         160
        .size:           4
        .value_kind:     hidden_block_count_x
      - .offset:         164
        .size:           4
        .value_kind:     hidden_block_count_y
      - .offset:         168
        .size:           4
        .value_kind:     hidden_block_count_z
      - .offset:         172
        .size:           2
        .value_kind:     hidden_group_size_x
      - .offset:         174
        .size:           2
        .value_kind:     hidden_group_size_y
      - .offset:         176
        .size:           2
        .value_kind:     hidden_group_size_z
      - .offset:         178
        .size:           2
        .value_kind:     hidden_remainder_x
      - .offset:         180
        .size:           2
        .value_kind:     hidden_remainder_y
      - .offset:         182
        .size:           2
        .value_kind:     hidden_remainder_z
      - .offset:         200
        .size:           8
        .value_kind:     hidden_global_offset_x
      - .offset:         208
        .size:           8
        .value_kind:     hidden_global_offset_y
      - .offset:         216
        .size:           8
        .value_kind:     hidden_global_offset_z
      - .offset:         224
        .size:           2
        .value_kind:     hidden_grid_dims
      - .offset:         280
        .size:           4
        .value_kind:     hidden_dynamic_lds_size
    .group_segment_fixed_size: 0
    .kernarg_segment_align: 8
    .kernarg_segment_size: 416
    .language:       OpenCL C
    .language_version:
      - 2
      - 0
    .max_flat_workgroup_size: 1024
    .name:           _ZL12soft_max_f32ILb1ELi1024ELi1024EfEvPKfPKT2_S1_Pf15soft_max_params
    .private_segment_fixed_size: 0
    .sgpr_count:     40
    .sgpr_spill_count: 0
    .symbol:         _ZL12soft_max_f32ILb1ELi1024ELi1024EfEvPKfPKT2_S1_Pf15soft_max_params.kd
    .uniform_work_group_size: 1
    .uses_dynamic_stack: false
    .vgpr_count:     14
    .vgpr_spill_count: 0
    .wavefront_size: 64
  - .args:
      - .address_space:  global
        .offset:         0
        .size:           8
        .value_kind:     global_buffer
      - .address_space:  global
        .offset:         8
        .size:           8
        .value_kind:     global_buffer
      - .address_space:  global
        .offset:         16
        .size:           8
        .value_kind:     global_buffer
      - .address_space:  global
        .offset:         24
        .size:           8
        .value_kind:     global_buffer
      - .offset:         32
        .size:           128
        .value_kind:     by_value
      - .offset:         160
        .size:           4
        .value_kind:     hidden_block_count_x
      - .offset:         164
        .size:           4
        .value_kind:     hidden_block_count_y
      - .offset:         168
        .size:           4
        .value_kind:     hidden_block_count_z
      - .offset:         172
        .size:           2
        .value_kind:     hidden_group_size_x
      - .offset:         174
        .size:           2
        .value_kind:     hidden_group_size_y
      - .offset:         176
        .size:           2
        .value_kind:     hidden_group_size_z
      - .offset:         178
        .size:           2
        .value_kind:     hidden_remainder_x
      - .offset:         180
        .size:           2
        .value_kind:     hidden_remainder_y
      - .offset:         182
        .size:           2
        .value_kind:     hidden_remainder_z
      - .offset:         200
        .size:           8
        .value_kind:     hidden_global_offset_x
      - .offset:         208
        .size:           8
        .value_kind:     hidden_global_offset_y
      - .offset:         216
        .size:           8
        .value_kind:     hidden_global_offset_z
      - .offset:         224
        .size:           2
        .value_kind:     hidden_grid_dims
      - .offset:         280
        .size:           4
        .value_kind:     hidden_dynamic_lds_size
    .group_segment_fixed_size: 0
    .kernarg_segment_align: 8
    .kernarg_segment_size: 416
    .language:       OpenCL C
    .language_version:
      - 2
      - 0
    .max_flat_workgroup_size: 1024
    .name:           _ZL12soft_max_f32ILb1ELi512ELi512EfEvPKfPKT2_S1_Pf15soft_max_params
    .private_segment_fixed_size: 0
    .sgpr_count:     40
    .sgpr_spill_count: 0
    .symbol:         _ZL12soft_max_f32ILb1ELi512ELi512EfEvPKfPKT2_S1_Pf15soft_max_params.kd
    .uniform_work_group_size: 1
    .uses_dynamic_stack: false
    .vgpr_count:     14
    .vgpr_spill_count: 0
    .wavefront_size: 64
  - .args:
      - .address_space:  global
        .offset:         0
        .size:           8
        .value_kind:     global_buffer
      - .address_space:  global
        .offset:         8
        .size:           8
        .value_kind:     global_buffer
      - .address_space:  global
        .offset:         16
        .size:           8
        .value_kind:     global_buffer
      - .address_space:  global
        .offset:         24
        .size:           8
        .value_kind:     global_buffer
      - .offset:         32
        .size:           128
        .value_kind:     by_value
      - .offset:         160
        .size:           4
        .value_kind:     hidden_block_count_x
      - .offset:         164
        .size:           4
        .value_kind:     hidden_block_count_y
      - .offset:         168
        .size:           4
        .value_kind:     hidden_block_count_z
      - .offset:         172
        .size:           2
        .value_kind:     hidden_group_size_x
      - .offset:         174
        .size:           2
        .value_kind:     hidden_group_size_y
      - .offset:         176
        .size:           2
        .value_kind:     hidden_group_size_z
      - .offset:         178
        .size:           2
        .value_kind:     hidden_remainder_x
      - .offset:         180
        .size:           2
        .value_kind:     hidden_remainder_y
      - .offset:         182
        .size:           2
        .value_kind:     hidden_remainder_z
      - .offset:         200
        .size:           8
        .value_kind:     hidden_global_offset_x
      - .offset:         208
        .size:           8
        .value_kind:     hidden_global_offset_y
      - .offset:         216
        .size:           8
        .value_kind:     hidden_global_offset_z
      - .offset:         224
        .size:           2
        .value_kind:     hidden_grid_dims
      - .offset:         280
        .size:           4
        .value_kind:     hidden_dynamic_lds_size
    .group_segment_fixed_size: 0
    .kernarg_segment_align: 8
    .kernarg_segment_size: 416
    .language:       OpenCL C
    .language_version:
      - 2
      - 0
    .max_flat_workgroup_size: 1024
    .name:           _ZL12soft_max_f32ILb1ELi256ELi256EfEvPKfPKT2_S1_Pf15soft_max_params
    .private_segment_fixed_size: 0
    .sgpr_count:     40
    .sgpr_spill_count: 0
    .symbol:         _ZL12soft_max_f32ILb1ELi256ELi256EfEvPKfPKT2_S1_Pf15soft_max_params.kd
    .uniform_work_group_size: 1
    .uses_dynamic_stack: false
    .vgpr_count:     14
    .vgpr_spill_count: 0
    .wavefront_size: 64
  - .args:
      - .address_space:  global
        .offset:         0
        .size:           8
        .value_kind:     global_buffer
      - .address_space:  global
        .offset:         8
        .size:           8
        .value_kind:     global_buffer
      - .address_space:  global
        .offset:         16
        .size:           8
        .value_kind:     global_buffer
      - .address_space:  global
        .offset:         24
        .size:           8
        .value_kind:     global_buffer
      - .offset:         32
        .size:           128
        .value_kind:     by_value
      - .offset:         160
        .size:           4
        .value_kind:     hidden_block_count_x
      - .offset:         164
        .size:           4
        .value_kind:     hidden_block_count_y
      - .offset:         168
        .size:           4
        .value_kind:     hidden_block_count_z
      - .offset:         172
        .size:           2
        .value_kind:     hidden_group_size_x
      - .offset:         174
        .size:           2
        .value_kind:     hidden_group_size_y
      - .offset:         176
        .size:           2
        .value_kind:     hidden_group_size_z
      - .offset:         178
        .size:           2
        .value_kind:     hidden_remainder_x
      - .offset:         180
        .size:           2
        .value_kind:     hidden_remainder_y
      - .offset:         182
        .size:           2
        .value_kind:     hidden_remainder_z
      - .offset:         200
        .size:           8
        .value_kind:     hidden_global_offset_x
      - .offset:         208
        .size:           8
        .value_kind:     hidden_global_offset_y
      - .offset:         216
        .size:           8
        .value_kind:     hidden_global_offset_z
      - .offset:         224
        .size:           2
        .value_kind:     hidden_grid_dims
      - .offset:         280
        .size:           4
        .value_kind:     hidden_dynamic_lds_size
    .group_segment_fixed_size: 0
    .kernarg_segment_align: 8
    .kernarg_segment_size: 416
    .language:       OpenCL C
    .language_version:
      - 2
      - 0
    .max_flat_workgroup_size: 1024
    .name:           _ZL12soft_max_f32ILb1ELi128ELi128EfEvPKfPKT2_S1_Pf15soft_max_params
    .private_segment_fixed_size: 0
    .sgpr_count:     40
    .sgpr_spill_count: 0
    .symbol:         _ZL12soft_max_f32ILb1ELi128ELi128EfEvPKfPKT2_S1_Pf15soft_max_params.kd
    .uniform_work_group_size: 1
    .uses_dynamic_stack: false
    .vgpr_count:     14
    .vgpr_spill_count: 0
    .wavefront_size: 64
  - .args:
      - .address_space:  global
        .offset:         0
        .size:           8
        .value_kind:     global_buffer
      - .address_space:  global
        .offset:         8
        .size:           8
        .value_kind:     global_buffer
      - .address_space:  global
        .offset:         16
        .size:           8
        .value_kind:     global_buffer
      - .address_space:  global
        .offset:         24
        .size:           8
        .value_kind:     global_buffer
      - .offset:         32
        .size:           128
        .value_kind:     by_value
      - .offset:         160
        .size:           4
        .value_kind:     hidden_block_count_x
      - .offset:         164
        .size:           4
        .value_kind:     hidden_block_count_y
      - .offset:         168
        .size:           4
        .value_kind:     hidden_block_count_z
      - .offset:         172
        .size:           2
        .value_kind:     hidden_group_size_x
      - .offset:         174
        .size:           2
        .value_kind:     hidden_group_size_y
      - .offset:         176
        .size:           2
        .value_kind:     hidden_group_size_z
      - .offset:         178
        .size:           2
        .value_kind:     hidden_remainder_x
      - .offset:         180
        .size:           2
        .value_kind:     hidden_remainder_y
      - .offset:         182
        .size:           2
        .value_kind:     hidden_remainder_z
      - .offset:         200
        .size:           8
        .value_kind:     hidden_global_offset_x
      - .offset:         208
        .size:           8
        .value_kind:     hidden_global_offset_y
      - .offset:         216
        .size:           8
        .value_kind:     hidden_global_offset_z
      - .offset:         224
        .size:           2
        .value_kind:     hidden_grid_dims
      - .offset:         280
        .size:           4
        .value_kind:     hidden_dynamic_lds_size
    .group_segment_fixed_size: 0
    .kernarg_segment_align: 8
    .kernarg_segment_size: 416
    .language:       OpenCL C
    .language_version:
      - 2
      - 0
    .max_flat_workgroup_size: 1024
    .name:           _ZL12soft_max_f32ILb1ELi64ELi64EfEvPKfPKT2_S1_Pf15soft_max_params
    .private_segment_fixed_size: 0
    .sgpr_count:     40
    .sgpr_spill_count: 0
    .symbol:         _ZL12soft_max_f32ILb1ELi64ELi64EfEvPKfPKT2_S1_Pf15soft_max_params.kd
    .uniform_work_group_size: 1
    .uses_dynamic_stack: false
    .vgpr_count:     14
    .vgpr_spill_count: 0
    .wavefront_size: 64
  - .args:
      - .address_space:  global
        .offset:         0
        .size:           8
        .value_kind:     global_buffer
      - .address_space:  global
        .offset:         8
        .size:           8
        .value_kind:     global_buffer
      - .address_space:  global
        .offset:         16
        .size:           8
        .value_kind:     global_buffer
      - .address_space:  global
        .offset:         24
        .size:           8
        .value_kind:     global_buffer
      - .offset:         32
        .size:           128
        .value_kind:     by_value
      - .offset:         160
        .size:           4
        .value_kind:     hidden_block_count_x
      - .offset:         164
        .size:           4
        .value_kind:     hidden_block_count_y
      - .offset:         168
        .size:           4
        .value_kind:     hidden_block_count_z
      - .offset:         172
        .size:           2
        .value_kind:     hidden_group_size_x
      - .offset:         174
        .size:           2
        .value_kind:     hidden_group_size_y
      - .offset:         176
        .size:           2
        .value_kind:     hidden_group_size_z
      - .offset:         178
        .size:           2
        .value_kind:     hidden_remainder_x
      - .offset:         180
        .size:           2
        .value_kind:     hidden_remainder_y
      - .offset:         182
        .size:           2
        .value_kind:     hidden_remainder_z
      - .offset:         200
        .size:           8
        .value_kind:     hidden_global_offset_x
      - .offset:         208
        .size:           8
        .value_kind:     hidden_global_offset_y
      - .offset:         216
        .size:           8
        .value_kind:     hidden_global_offset_z
      - .offset:         224
        .size:           2
        .value_kind:     hidden_grid_dims
      - .offset:         280
        .size:           4
        .value_kind:     hidden_dynamic_lds_size
    .group_segment_fixed_size: 0
    .kernarg_segment_align: 8
    .kernarg_segment_size: 416
    .language:       OpenCL C
    .language_version:
      - 2
      - 0
    .max_flat_workgroup_size: 1024
    .name:           _ZL12soft_max_f32ILb1ELi32ELi32EfEvPKfPKT2_S1_Pf15soft_max_params
    .private_segment_fixed_size: 0
    .sgpr_count:     40
    .sgpr_spill_count: 0
    .symbol:         _ZL12soft_max_f32ILb1ELi32ELi32EfEvPKfPKT2_S1_Pf15soft_max_params.kd
    .uniform_work_group_size: 1
    .uses_dynamic_stack: false
    .vgpr_count:     13
    .vgpr_spill_count: 0
    .wavefront_size: 64
  - .args:
      - .address_space:  global
        .offset:         0
        .size:           8
        .value_kind:     global_buffer
      - .address_space:  global
        .offset:         8
        .size:           8
        .value_kind:     global_buffer
      - .address_space:  global
        .offset:         16
        .size:           8
        .value_kind:     global_buffer
      - .address_space:  global
        .offset:         24
        .size:           8
        .value_kind:     global_buffer
      - .offset:         32
        .size:           128
        .value_kind:     by_value
      - .offset:         160
        .size:           4
        .value_kind:     hidden_block_count_x
      - .offset:         164
        .size:           4
        .value_kind:     hidden_block_count_y
      - .offset:         168
        .size:           4
        .value_kind:     hidden_block_count_z
      - .offset:         172
        .size:           2
        .value_kind:     hidden_group_size_x
      - .offset:         174
        .size:           2
        .value_kind:     hidden_group_size_y
      - .offset:         176
        .size:           2
        .value_kind:     hidden_group_size_z
      - .offset:         178
        .size:           2
        .value_kind:     hidden_remainder_x
      - .offset:         180
        .size:           2
        .value_kind:     hidden_remainder_y
      - .offset:         182
        .size:           2
        .value_kind:     hidden_remainder_z
      - .offset:         200
        .size:           8
        .value_kind:     hidden_global_offset_x
      - .offset:         208
        .size:           8
        .value_kind:     hidden_global_offset_y
      - .offset:         216
        .size:           8
        .value_kind:     hidden_global_offset_z
      - .offset:         224
        .size:           2
        .value_kind:     hidden_grid_dims
      - .offset:         240
        .size:           8
        .value_kind:     hidden_hostcall_buffer
      - .offset:         280
        .size:           4
        .value_kind:     hidden_dynamic_lds_size
    .group_segment_fixed_size: 0
    .kernarg_segment_align: 8
    .kernarg_segment_size: 416
    .language:       OpenCL C
    .language_version:
      - 2
      - 0
    .max_flat_workgroup_size: 1024
    .name:           _ZL12soft_max_f32ILb1ELi0ELi0EfEvPKfPKT2_S1_Pf15soft_max_params
    .private_segment_fixed_size: 64
    .sgpr_count:     59
    .sgpr_spill_count: 0
    .symbol:         _ZL12soft_max_f32ILb1ELi0ELi0EfEvPKfPKT2_S1_Pf15soft_max_params.kd
    .uniform_work_group_size: 1
    .uses_dynamic_stack: false
    .vgpr_count:     55
    .vgpr_spill_count: 0
    .wavefront_size: 64
  - .args:
      - .address_space:  global
        .offset:         0
        .size:           8
        .value_kind:     global_buffer
      - .address_space:  global
        .offset:         8
        .size:           8
        .value_kind:     global_buffer
      - .address_space:  global
        .offset:         16
        .size:           8
        .value_kind:     global_buffer
      - .address_space:  global
        .offset:         24
        .size:           8
        .value_kind:     global_buffer
      - .offset:         32
        .size:           128
        .value_kind:     by_value
      - .offset:         160
        .size:           4
        .value_kind:     hidden_block_count_x
      - .offset:         164
        .size:           4
        .value_kind:     hidden_block_count_y
      - .offset:         168
        .size:           4
        .value_kind:     hidden_block_count_z
      - .offset:         172
        .size:           2
        .value_kind:     hidden_group_size_x
      - .offset:         174
        .size:           2
        .value_kind:     hidden_group_size_y
      - .offset:         176
        .size:           2
        .value_kind:     hidden_group_size_z
      - .offset:         178
        .size:           2
        .value_kind:     hidden_remainder_x
      - .offset:         180
        .size:           2
        .value_kind:     hidden_remainder_y
      - .offset:         182
        .size:           2
        .value_kind:     hidden_remainder_z
      - .offset:         200
        .size:           8
        .value_kind:     hidden_global_offset_x
      - .offset:         208
        .size:           8
        .value_kind:     hidden_global_offset_y
      - .offset:         216
        .size:           8
        .value_kind:     hidden_global_offset_z
      - .offset:         224
        .size:           2
        .value_kind:     hidden_grid_dims
      - .offset:         240
        .size:           8
        .value_kind:     hidden_hostcall_buffer
      - .offset:         280
        .size:           4
        .value_kind:     hidden_dynamic_lds_size
    .group_segment_fixed_size: 0
    .kernarg_segment_align: 8
    .kernarg_segment_size: 416
    .language:       OpenCL C
    .language_version:
      - 2
      - 0
    .max_flat_workgroup_size: 1024
    .name:           _ZL12soft_max_f32ILb0ELi0ELi0EfEvPKfPKT2_S1_Pf15soft_max_params
    .private_segment_fixed_size: 64
    .sgpr_count:     59
    .sgpr_spill_count: 0
    .symbol:         _ZL12soft_max_f32ILb0ELi0ELi0EfEvPKfPKT2_S1_Pf15soft_max_params.kd
    .uniform_work_group_size: 1
    .uses_dynamic_stack: false
    .vgpr_count:     55
    .vgpr_spill_count: 0
    .wavefront_size: 64
amdhsa.target:   amdgcn-amd-amdhsa--gfx906
amdhsa.version:
  - 1
  - 2
...

	.end_amdgpu_metadata
